;; amdgpu-corpus repo=pytorch/pytorch kind=compiled arch=gfx1100 opt=O3
	.text
	.amdgcn_target "amdgcn-amd-amdhsa--gfx1100"
	.amdhsa_code_object_version 6
	.section	.text._ZN2at6native12_GLOBAL__N_143distribution_elementwise_grid_stride_kernelIdLi2EZNS0_9templates4cuda20normal_and_transformIddPNS_17CUDAGeneratorImplEZZZNS4_17log_normal_kernelIS7_EEvRNS_18TensorIteratorBaseEddT_ENKUlvE_clEvENKUlvE_clEvEUldE_EEvSA_T1_T2_EUlP25hiprandStatePhilox4_32_10E_ZNS1_27distribution_nullary_kernelIdd15HIP_vector_typeIdLj2EES7_SJ_SE_EEvSA_SG_RKT3_T4_EUlidE_EEvlNS_15PhiloxCudaStateESF_SG_,"axG",@progbits,_ZN2at6native12_GLOBAL__N_143distribution_elementwise_grid_stride_kernelIdLi2EZNS0_9templates4cuda20normal_and_transformIddPNS_17CUDAGeneratorImplEZZZNS4_17log_normal_kernelIS7_EEvRNS_18TensorIteratorBaseEddT_ENKUlvE_clEvENKUlvE_clEvEUldE_EEvSA_T1_T2_EUlP25hiprandStatePhilox4_32_10E_ZNS1_27distribution_nullary_kernelIdd15HIP_vector_typeIdLj2EES7_SJ_SE_EEvSA_SG_RKT3_T4_EUlidE_EEvlNS_15PhiloxCudaStateESF_SG_,comdat
	.globl	_ZN2at6native12_GLOBAL__N_143distribution_elementwise_grid_stride_kernelIdLi2EZNS0_9templates4cuda20normal_and_transformIddPNS_17CUDAGeneratorImplEZZZNS4_17log_normal_kernelIS7_EEvRNS_18TensorIteratorBaseEddT_ENKUlvE_clEvENKUlvE_clEvEUldE_EEvSA_T1_T2_EUlP25hiprandStatePhilox4_32_10E_ZNS1_27distribution_nullary_kernelIdd15HIP_vector_typeIdLj2EES7_SJ_SE_EEvSA_SG_RKT3_T4_EUlidE_EEvlNS_15PhiloxCudaStateESF_SG_ ; -- Begin function _ZN2at6native12_GLOBAL__N_143distribution_elementwise_grid_stride_kernelIdLi2EZNS0_9templates4cuda20normal_and_transformIddPNS_17CUDAGeneratorImplEZZZNS4_17log_normal_kernelIS7_EEvRNS_18TensorIteratorBaseEddT_ENKUlvE_clEvENKUlvE_clEvEUldE_EEvSA_T1_T2_EUlP25hiprandStatePhilox4_32_10E_ZNS1_27distribution_nullary_kernelIdd15HIP_vector_typeIdLj2EES7_SJ_SE_EEvSA_SG_RKT3_T4_EUlidE_EEvlNS_15PhiloxCudaStateESF_SG_
	.p2align	8
	.type	_ZN2at6native12_GLOBAL__N_143distribution_elementwise_grid_stride_kernelIdLi2EZNS0_9templates4cuda20normal_and_transformIddPNS_17CUDAGeneratorImplEZZZNS4_17log_normal_kernelIS7_EEvRNS_18TensorIteratorBaseEddT_ENKUlvE_clEvENKUlvE_clEvEUldE_EEvSA_T1_T2_EUlP25hiprandStatePhilox4_32_10E_ZNS1_27distribution_nullary_kernelIdd15HIP_vector_typeIdLj2EES7_SJ_SE_EEvSA_SG_RKT3_T4_EUlidE_EEvlNS_15PhiloxCudaStateESF_SG_,@function
_ZN2at6native12_GLOBAL__N_143distribution_elementwise_grid_stride_kernelIdLi2EZNS0_9templates4cuda20normal_and_transformIddPNS_17CUDAGeneratorImplEZZZNS4_17log_normal_kernelIS7_EEvRNS_18TensorIteratorBaseEddT_ENKUlvE_clEvENKUlvE_clEvEUldE_EEvSA_T1_T2_EUlP25hiprandStatePhilox4_32_10E_ZNS1_27distribution_nullary_kernelIdd15HIP_vector_typeIdLj2EES7_SJ_SE_EEvSA_SG_RKT3_T4_EUlidE_EEvlNS_15PhiloxCudaStateESF_SG_: ; @_ZN2at6native12_GLOBAL__N_143distribution_elementwise_grid_stride_kernelIdLi2EZNS0_9templates4cuda20normal_and_transformIddPNS_17CUDAGeneratorImplEZZZNS4_17log_normal_kernelIS7_EEvRNS_18TensorIteratorBaseEddT_ENKUlvE_clEvENKUlvE_clEvEUldE_EEvSA_T1_T2_EUlP25hiprandStatePhilox4_32_10E_ZNS1_27distribution_nullary_kernelIdd15HIP_vector_typeIdLj2EES7_SJ_SE_EEvSA_SG_RKT3_T4_EUlidE_EEvlNS_15PhiloxCudaStateESF_SG_
; %bb.0:
	s_clause 0x2
	s_load_b64 s[8:9], s[0:1], 0x10
	s_load_b128 s[4:7], s[0:1], 0x0
	s_load_b32 s2, s[0:1], 0x20
	s_waitcnt lgkmcnt(0)
	v_dual_mov_b32 v2, s8 :: v_dual_mov_b32 v3, s9
	v_dual_mov_b32 v11, s7 :: v_dual_mov_b32 v10, s6
	s_bitcmp0_b32 s2, 0
	s_mov_b32 s2, 0
	s_cbranch_scc1 .LBB0_2
; %bb.1:
	v_dual_mov_b32 v1, s8 :: v_dual_mov_b32 v2, s9
	v_dual_mov_b32 v4, s6 :: v_dual_mov_b32 v5, s7
	s_load_b64 s[6:7], s[0:1], 0x18
	flat_load_b64 v[2:3], v[1:2]
	flat_load_b64 v[10:11], v[4:5]
	s_waitcnt vmcnt(1) lgkmcnt(0)
	v_add_co_u32 v2, vcc_lo, v2, s6
	v_add_co_ci_u32_e32 v3, vcc_lo, s7, v3, vcc_lo
.LBB0_2:
	s_clause 0x1
	s_load_b32 s3, s[0:1], 0x5c
	s_load_b32 s38, s[0:1], 0x50
	s_waitcnt lgkmcnt(0)
	s_and_b32 s29, s3, 0xffff
	s_add_u32 s6, s4, -1
	s_mul_i32 s33, s38, s29
	s_addc_u32 s3, s5, -1
	s_lshl_b32 s90, s33, 1
	s_cmp_lg_u64 s[2:3], 0
	s_cbranch_scc0 .LBB0_23
; %bb.3:
	v_cvt_f32_ubyte0_e32 v1, 0
	v_cvt_f32_u32_e32 v4, s90
	s_sub_u32 s8, 0, s90
	s_subb_u32 s9, 0, 0
	s_delay_alu instid0(VALU_DEP_1) | instskip(NEXT) | instid1(VALU_DEP_1)
	v_fmamk_f32 v1, v1, 0x4f800000, v4
	v_rcp_f32_e32 v1, v1
	s_waitcnt_depctr 0xfff
	v_mul_f32_e32 v1, 0x5f7ffffc, v1
	s_delay_alu instid0(VALU_DEP_1) | instskip(NEXT) | instid1(VALU_DEP_1)
	v_mul_f32_e32 v4, 0x2f800000, v1
	v_trunc_f32_e32 v4, v4
	s_delay_alu instid0(VALU_DEP_1) | instskip(SKIP_1) | instid1(VALU_DEP_2)
	v_fmamk_f32 v1, v4, 0xcf800000, v1
	v_cvt_u32_f32_e32 v4, v4
	v_cvt_u32_f32_e32 v1, v1
	s_delay_alu instid0(VALU_DEP_2) | instskip(NEXT) | instid1(VALU_DEP_2)
	v_readfirstlane_b32 s2, v4
	v_readfirstlane_b32 s7, v1
	s_delay_alu instid0(VALU_DEP_2) | instskip(NEXT) | instid1(VALU_DEP_1)
	s_mul_i32 s10, s8, s2
	s_mul_hi_u32 s12, s8, s7
	s_mul_i32 s11, s9, s7
	s_add_i32 s10, s12, s10
	s_mul_i32 s13, s8, s7
	s_add_i32 s10, s10, s11
	s_mul_hi_u32 s12, s7, s13
	s_mul_hi_u32 s14, s2, s13
	s_mul_i32 s11, s2, s13
	s_mul_hi_u32 s13, s7, s10
	s_mul_i32 s7, s7, s10
	s_mul_hi_u32 s16, s2, s10
	s_add_u32 s7, s12, s7
	s_addc_u32 s12, 0, s13
	s_add_u32 s7, s7, s11
	s_mul_i32 s10, s2, s10
	s_addc_u32 s7, s12, s14
	s_addc_u32 s11, s16, 0
	s_add_u32 s7, s7, s10
	s_addc_u32 s10, 0, s11
	v_add_co_u32 v1, s7, v1, s7
	s_delay_alu instid0(VALU_DEP_1) | instskip(SKIP_1) | instid1(VALU_DEP_1)
	s_cmp_lg_u32 s7, 0
	s_addc_u32 s2, s2, s10
	v_readfirstlane_b32 s7, v1
	s_mul_i32 s10, s8, s2
	s_delay_alu instid0(VALU_DEP_1)
	s_mul_hi_u32 s11, s8, s7
	s_mul_i32 s9, s9, s7
	s_add_i32 s10, s11, s10
	s_mul_i32 s8, s8, s7
	s_add_i32 s10, s10, s9
	s_mul_hi_u32 s11, s2, s8
	s_mul_i32 s12, s2, s8
	s_mul_hi_u32 s8, s7, s8
	s_mul_hi_u32 s13, s7, s10
	s_mul_i32 s7, s7, s10
	s_mul_hi_u32 s9, s2, s10
	s_add_u32 s7, s8, s7
	s_addc_u32 s8, 0, s13
	s_add_u32 s7, s7, s12
	s_mul_i32 s10, s2, s10
	s_addc_u32 s7, s8, s11
	s_addc_u32 s8, s9, 0
	s_add_u32 s7, s7, s10
	s_addc_u32 s8, 0, s8
	v_add_co_u32 v1, s7, v1, s7
	s_delay_alu instid0(VALU_DEP_1) | instskip(SKIP_2) | instid1(VALU_DEP_1)
	s_cmp_lg_u32 s7, 0
	s_addc_u32 s7, s2, s8
	s_ashr_i32 s8, s3, 31
	v_readfirstlane_b32 s10, v1
	s_add_u32 s2, s6, s8
	s_mov_b32 s9, s8
	s_addc_u32 s3, s3, s8
	s_delay_alu instid0(SALU_CYCLE_1) | instskip(NEXT) | instid1(SALU_CYCLE_1)
	s_xor_b64 s[2:3], s[2:3], s[8:9]
	s_mul_i32 s12, s2, s7
	s_mul_hi_u32 s13, s2, s10
	s_mul_hi_u32 s11, s2, s7
	;; [unrolled: 1-line block ×3, first 2 shown]
	s_mul_i32 s10, s3, s10
	s_add_u32 s12, s13, s12
	s_addc_u32 s11, 0, s11
	s_mul_hi_u32 s14, s3, s7
	s_add_u32 s10, s12, s10
	s_mul_i32 s7, s3, s7
	s_addc_u32 s10, s11, s16
	s_addc_u32 s11, s14, 0
	s_add_u32 s7, s10, s7
	s_addc_u32 s10, 0, s11
	s_mul_i32 s12, s90, s7
	s_add_u32 s11, s7, 1
	v_sub_co_u32 v1, s2, s2, s12
	s_mul_hi_u32 s12, s90, s7
	s_addc_u32 s13, s10, 0
	s_mul_i32 s14, s90, s10
	s_delay_alu instid0(VALU_DEP_1)
	v_sub_co_u32 v4, s16, v1, s90
	s_add_u32 s17, s7, 2
	s_addc_u32 s18, s10, 0
	s_add_i32 s12, s12, s14
	s_cmp_lg_u32 s2, 0
	v_readfirstlane_b32 s2, v4
	s_subb_u32 s3, s3, s12
	s_cmp_lg_u32 s16, 0
	s_subb_u32 s12, s3, 0
	s_delay_alu instid0(VALU_DEP_1) | instskip(SKIP_4) | instid1(SALU_CYCLE_1)
	s_cmp_ge_u32 s2, s90
	s_cselect_b32 s2, -1, 0
	s_cmp_eq_u32 s12, 0
	v_readfirstlane_b32 s12, v1
	s_cselect_b32 s2, s2, -1
	s_cmp_lg_u32 s2, 0
	s_cselect_b32 s2, s17, s11
	s_cselect_b32 s11, s18, s13
	s_cmp_ge_u32 s12, s90
	s_cselect_b32 s12, -1, 0
	s_cmp_eq_u32 s3, 0
	s_cselect_b32 s3, s12, -1
	s_delay_alu instid0(SALU_CYCLE_1) | instskip(SKIP_2) | instid1(SALU_CYCLE_1)
	s_cmp_lg_u32 s3, 0
	s_cselect_b32 s3, s11, s10
	s_cselect_b32 s2, s2, s7
	s_xor_b64 s[2:3], s[2:3], s[8:9]
	s_delay_alu instid0(SALU_CYCLE_1)
	s_sub_u32 s2, s2, s8
	s_subb_u32 s3, s3, s8
	s_cbranch_execnz .LBB0_5
.LBB0_4:
	v_cvt_f32_u32_e32 v1, s90
	s_sub_i32 s3, 0, s90
	s_delay_alu instid0(VALU_DEP_1) | instskip(SKIP_2) | instid1(VALU_DEP_1)
	v_rcp_iflag_f32_e32 v1, v1
	s_waitcnt_depctr 0xfff
	v_mul_f32_e32 v1, 0x4f7ffffe, v1
	v_cvt_u32_f32_e32 v1, v1
	s_delay_alu instid0(VALU_DEP_1) | instskip(NEXT) | instid1(VALU_DEP_1)
	v_readfirstlane_b32 s2, v1
	s_mul_i32 s3, s3, s2
	s_delay_alu instid0(SALU_CYCLE_1) | instskip(NEXT) | instid1(SALU_CYCLE_1)
	s_mul_hi_u32 s3, s2, s3
	s_add_i32 s2, s2, s3
	s_delay_alu instid0(SALU_CYCLE_1) | instskip(NEXT) | instid1(SALU_CYCLE_1)
	s_mul_hi_u32 s2, s6, s2
	s_mul_i32 s3, s2, s90
	s_delay_alu instid0(SALU_CYCLE_1)
	s_sub_i32 s3, s6, s3
	s_add_i32 s6, s2, 1
	s_sub_i32 s7, s3, s90
	s_cmp_ge_u32 s3, s90
	s_cselect_b32 s2, s6, s2
	s_cselect_b32 s3, s7, s3
	s_add_i32 s6, s2, 1
	s_cmp_ge_u32 s3, s90
	s_mov_b32 s3, 0
	s_cselect_b32 s2, s6, s2
.LBB0_5:
	v_mov_b32_e32 v1, 0
	s_add_u32 s2, s2, 1
	s_addc_u32 s3, s3, 0
	s_mul_hi_u32 s6, s33, s2
	s_mul_i32 s3, s33, s3
	v_mad_u64_u32 v[12:13], null, s29, s15, v[0:1]
	s_mul_hi_u32 s7, s38, s29
	s_add_i32 s3, s6, s3
	s_mul_i32 s7, s7, s2
	s_mul_i32 s2, s33, s2
	s_add_i32 s3, s3, s7
	s_delay_alu instid0(SALU_CYCLE_1)
	s_lshl_b64 s[6:7], s[2:3], 1
	s_mov_b32 s2, exec_lo
	v_cmpx_gt_i64_e64 s[6:7], v[12:13]
	s_cbranch_execz .LBB0_22
; %bb.6:
	v_alignbit_b32 v19, v3, v2, 2
	v_mad_u64_u32 v[6:7], null, 0xcd9e8d57, v12, 0
	v_lshrrev_b32_e32 v20, 2, v3
	s_waitcnt vmcnt(0)
	v_dual_mov_b32 v39, v11 :: v_dual_add_nc_u32 v26, 0x8ff34781, v10
	v_mad_u64_u32 v[4:5], null, 0xd2511f53, v19, 0
	v_add_co_u32 v22, null, 0x9e3779b9, v10
	s_delay_alu instid0(VALU_DEP_3) | instskip(SKIP_1) | instid1(VALU_DEP_4)
	v_add_co_u32 v21, null, 0xbb67ae85, v39
	v_add_co_u32 v23, null, 0x3c6ef372, v10
	v_xor_b32_e32 v3, v5, v11
	v_xor3_b32 v5, v10, v7, v20
	v_add_co_u32 v24, null, 0x76cf5d0a, v39
	v_and_b32_e32 v25, 3, v2
	s_delay_alu instid0(VALU_DEP_4) | instskip(NEXT) | instid1(VALU_DEP_4)
	v_xor_b32_e32 v3, v3, v13
	v_mad_u64_u32 v[7:8], null, 0xd2511f53, v5, 0
	v_add_co_u32 v27, null, 0x32370b8f, v39
	s_delay_alu instid0(VALU_DEP_3) | instskip(SKIP_1) | instid1(VALU_DEP_4)
	v_mad_u64_u32 v[14:15], null, 0xcd9e8d57, v3, 0
	v_add_co_u32 v28, null, 0xdaa66d2b, v10
	v_xor3_b32 v5, v21, v8, v4
	v_add_co_u32 v31, null, 0x78dde6e4, v10
	v_add_co_u32 v32, null, 0xed9eba14, v39
	v_xor3_b32 v8, v22, v15, v6
	s_delay_alu instid0(VALU_DEP_4) | instskip(SKIP_1) | instid1(VALU_DEP_3)
	v_mad_u64_u32 v[3:4], null, 0xcd9e8d57, v5, 0
	v_add_co_u32 v33, null, 0x1715609d, v10
	v_mad_u64_u32 v[5:6], null, 0xd2511f53, v8, 0
	v_add_co_u32 v35, null, 0xa9066899, v39
	s_delay_alu instid0(VALU_DEP_4) | instskip(SKIP_3) | instid1(VALU_DEP_4)
	v_xor3_b32 v4, v23, v4, v14
	v_add_co_u32 v34, null, 0xb54cda56, v10
	v_add_co_u32 v37, null, 0x646e171e, v39
	v_xor3_b32 v2, v24, v6, v7
	v_mad_u64_u32 v[6:7], null, 0xd2511f53, v4, 0
	v_add_co_u32 v30, null, 0x5384540f, v10
	s_delay_alu instid0(VALU_DEP_3) | instskip(SKIP_1) | instid1(VALU_DEP_4)
	v_mad_u64_u32 v[8:9], null, 0xcd9e8d57, v2, 0
	v_add_co_u32 v38, null, 0x1fd5c5a3, v39
	v_xor3_b32 v4, v27, v7, v5
	s_clause 0x1
	s_load_b64 s[12:13], s[0:1], 0x30
	s_load_b32 s2, s[0:1], 0x38
	v_mad_u64_u32 v[14:15], null, s15, s29, v[0:1]
	s_delay_alu instid0(VALU_DEP_4) | instskip(SKIP_2) | instid1(VALU_DEP_3)
	v_xor3_b32 v7, v28, v9, v3
	v_mad_u64_u32 v[2:3], null, 0xcd9e8d57, v4, 0
	v_add_co_u32 v36, null, 0xf1bbcdc8, v10
	v_mad_u64_u32 v[4:5], null, 0xd2511f53, v7, 0
	v_add_co_u32 v39, null, 0xdb3d7428, v39
	s_delay_alu instid0(VALU_DEP_4) | instskip(SKIP_3) | instid1(VALU_DEP_4)
	v_xor3_b32 v3, v31, v3, v8
	s_load_b128 s[8:11], s[0:1], 0x40
	s_add_i32 s0, s15, s38
	v_dual_mov_b32 v42, v12 :: v_dual_add_nc_u32 v29, 0x96a522ad, v11
	v_xor3_b32 v9, v32, v5, v6
	v_mad_u64_u32 v[5:6], null, 0xd2511f53, v3, 0
	s_waitcnt lgkmcnt(0)
	v_mul_lo_u32 v40, s2, v14
	v_mov_b32_e32 v43, v13
	v_mad_u64_u32 v[7:8], null, 0xcd9e8d57, v9, 0
	s_mov_b32 s14, 0x55555555
	s_mov_b32 s16, 0x6b47b09a
	s_delay_alu instid0(VALU_DEP_4) | instskip(SKIP_3) | instid1(VALU_DEP_2)
	v_xor3_b32 v4, v35, v6, v4
	s_mov_b32 s18, 0xbf559e2b
	s_mov_b32 s20, 0xd7f4df2e
	;; [unrolled: 1-line block ×3, first 2 shown]
	v_xor3_b32 v6, v33, v8, v2
	v_mad_u64_u32 v[2:3], null, 0xcd9e8d57, v4, 0
	s_mov_b32 s24, 0x9b27acf1
	s_mov_b32 s26, 0x998ef7b6
	s_delay_alu instid0(VALU_DEP_2) | instskip(SKIP_2) | instid1(VALU_DEP_2)
	v_mad_u64_u32 v[8:9], null, 0xd2511f53, v6, 0
	s_mov_b32 s30, 0xfefa39ef
	s_mov_b32 s34, 0x3b39803f
	v_xor3_b32 v6, v34, v3, v7
	s_mov_b32 s36, 0x6fdffd2b
	s_mov_b32 s40, 0xd5f14825
	;; [unrolled: 1-line block ×3, first 2 shown]
	s_delay_alu instid0(VALU_DEP_2) | instskip(SKIP_3) | instid1(VALU_DEP_2)
	v_xor3_b32 v7, v37, v9, v5
	v_mad_u64_u32 v[3:4], null, 0xd2511f53, v6, 0
	s_mov_b32 s44, 0x67754fff
	s_mov_b32 s46, 0xe625be09
	v_mad_u64_u32 v[5:6], null, 0xcd9e8d57, v7, 0
	s_mov_b32 s48, 0x54442d18
	s_mov_b32 s50, 0xca1d4f33
	s_delay_alu instid0(VALU_DEP_2) | instskip(SKIP_3) | instid1(VALU_DEP_2)
	v_xor3_b32 v4, v38, v4, v8
	s_mov_b32 s52, 0x2e21c33
	s_mov_b32 s54, 0x7294bff9
	;; [unrolled: 1-line block ×3, first 2 shown]
	v_xor3_b32 v2, v30, v6, v2
	v_mad_u64_u32 v[15:16], null, 0xcd9e8d57, v4, 0
	s_mov_b32 s58, 0x7e3c325b
	s_mov_b32 s60, 0x81b5a67
	s_delay_alu instid0(VALU_DEP_2) | instskip(SKIP_2) | instid1(VALU_DEP_2)
	v_mad_u64_u32 v[17:18], null, 0xd2511f53, v2, 0
	s_mov_b32 s62, 0xc9be45de
	s_mov_b32 s64, 0x652b82fe
	v_xor3_b32 v5, v36, v16, v5
	s_mov_b32 s66, 0xfca7ab0c
	s_mov_b32 s68, 0x6a5dcb37
	;; [unrolled: 1-line block ×3, first 2 shown]
	s_delay_alu instid0(VALU_DEP_2) | instskip(SKIP_2) | instid1(VALU_DEP_3)
	v_xor3_b32 v8, v39, v18, v3
	v_mad_u64_u32 v[2:3], null, s0, s29, v[0:1]
	v_mad_u64_u32 v[3:4], null, 0xd2511f53, v5, 0
	v_mad_u64_u32 v[6:7], null, 0xcd9e8d57, v8, 0
	s_mul_i32 s0, s38, s2
	s_mov_b32 s38, 0xf99eb0bb
	s_delay_alu instid0(VALU_DEP_3) | instskip(SKIP_1) | instid1(VALU_DEP_3)
	v_mul_lo_u32 v41, s2, v2
	s_mul_i32 s0, s0, s29
	v_mov_b32_e32 v8, v3
	s_mov_b32 s72, 0x7c89e6b0
	s_delay_alu instid0(VALU_DEP_3)
	v_xor3_b32 v5, v7, v15, v26
	v_xor3_b32 v7, v4, v17, v29
	s_mov_b32 s74, 0x14761f6e
	s_mov_b32 s76, 0x1852b7b0
	;; [unrolled: 1-line block ×18, first 2 shown]
	s_lshl_b32 s92, s0, 1
	s_mov_b32 s39, 0x3f3e357e
	s_mov_b32 s41, 0x3fb50782
	;; [unrolled: 1-line block ×27, first 2 shown]
	s_branch .LBB0_8
.LBB0_7:                                ;   in Loop: Header=BB0_8 Depth=1
	s_or_b32 exec_lo, exec_lo, s2
	v_add_co_u32 v12, vcc_lo, v12, s90
	v_add_co_ci_u32_e32 v13, vcc_lo, 0, v13, vcc_lo
	v_mov_b32_e32 v5, v14
	s_add_i32 s93, s93, s92
	s_waitcnt_vscnt null, 0x0
	s_delay_alu instid0(VALU_DEP_2)
	v_cmp_le_i64_e32 vcc_lo, s[6:7], v[12:13]
	s_barrier
	v_mov_b32_e32 v8, v5
	v_dual_mov_b32 v7, v4 :: v_dual_mov_b32 v6, v3
	v_mov_b32_e32 v5, v2
	s_or_b32 s91, vcc_lo, s91
	buffer_gl0_inv
	s_and_not1_b32 exec_lo, exec_lo, s91
	s_cbranch_execz .LBB0_22
.LBB0_8:                                ; =>This Inner Loop Header: Depth=1
	v_add_co_u32 v19, vcc_lo, v19, 1
	s_delay_alu instid0(VALU_DEP_1) | instskip(SKIP_1) | instid1(VALU_DEP_3)
	v_cndmask_b32_e64 v0, 0, 1, vcc_lo
	v_add_co_ci_u32_e32 v20, vcc_lo, 0, v20, vcc_lo
	v_mad_u64_u32 v[2:3], null, 0xd2511f53, v19, 0
	s_mov_b32 s0, exec_lo
	s_delay_alu instid0(VALU_DEP_2) | instskip(SKIP_1) | instid1(VALU_DEP_1)
	v_cmp_eq_u32_e32 vcc_lo, 0, v20
	v_cndmask_b32_e32 v0, 0, v0, vcc_lo
	v_add_nc_u32_e32 v42, v0, v42
	s_delay_alu instid0(VALU_DEP_1) | instskip(SKIP_2) | instid1(VALU_DEP_2)
	v_cmp_eq_u32_e32 vcc_lo, 0, v42
	v_mad_u64_u32 v[14:15], null, 0xcd9e8d57, v42, 0
	v_cndmask_b32_e32 v0, 0, v0, vcc_lo
	v_xor3_b32 v9, v15, v10, v20
	s_delay_alu instid0(VALU_DEP_2) | instskip(SKIP_1) | instid1(VALU_DEP_3)
	v_add_nc_u32_e32 v43, v0, v43
	v_xor_b32_e32 v0, v3, v11
	v_mad_u64_u32 v[3:4], null, 0xd2511f53, v9, 0
	s_delay_alu instid0(VALU_DEP_2) | instskip(NEXT) | instid1(VALU_DEP_1)
	v_xor_b32_e32 v0, v43, v0
	v_mad_u64_u32 v[15:16], null, 0xcd9e8d57, v0, 0
	s_delay_alu instid0(VALU_DEP_3) | instskip(NEXT) | instid1(VALU_DEP_2)
	v_xor3_b32 v0, v21, v4, v2
	v_xor3_b32 v2, v22, v16, v14
	s_delay_alu instid0(VALU_DEP_2) | instskip(NEXT) | instid1(VALU_DEP_2)
	v_mad_u64_u32 v[16:17], null, 0xcd9e8d57, v0, 0
	v_mad_u64_u32 v[44:45], null, 0xd2511f53, v2, 0
	s_delay_alu instid0(VALU_DEP_2) | instskip(NEXT) | instid1(VALU_DEP_2)
	v_xor3_b32 v0, v23, v17, v15
	v_xor3_b32 v4, v24, v45, v3
	s_delay_alu instid0(VALU_DEP_2) | instskip(NEXT) | instid1(VALU_DEP_2)
	v_mad_u64_u32 v[2:3], null, 0xd2511f53, v0, 0
	v_mad_u64_u32 v[14:15], null, 0xcd9e8d57, v4, 0
	s_delay_alu instid0(VALU_DEP_2) | instskip(NEXT) | instid1(VALU_DEP_2)
	;; [unrolled: 6-line block ×8, first 2 shown]
	v_xor3_b32 v9, v15, v44, v29
	v_xor3_b32 v2, v4, v16, v26
	s_delay_alu instid0(VALU_DEP_2)
	v_mov_b32_e32 v4, v9
	v_cmpx_lt_i32_e32 1, v25
	s_xor_b32 s0, exec_lo, s0
	s_cbranch_execz .LBB0_14
; %bb.9:                                ;   in Loop: Header=BB0_8 Depth=1
	s_mov_b32 s1, exec_lo
	v_cmpx_lt_i32_e32 2, v25
	s_xor_b32 s1, exec_lo, s1
; %bb.10:                               ;   in Loop: Header=BB0_8 Depth=1
	v_dual_mov_b32 v6, v8 :: v_dual_mov_b32 v7, v2
	v_mov_b32_e32 v8, v3
	s_delay_alu instid0(VALU_DEP_2) | instskip(NEXT) | instid1(VALU_DEP_3)
	v_mov_b32_e32 v5, v6
	v_mov_b32_e32 v6, v7
	s_delay_alu instid0(VALU_DEP_3)
	v_mov_b32_e32 v7, v8
	v_mov_b32_e32 v8, v9
; %bb.11:                               ;   in Loop: Header=BB0_8 Depth=1
	s_and_not1_saveexec_b32 s1, s1
; %bb.12:                               ;   in Loop: Header=BB0_8 Depth=1
	s_delay_alu instid0(VALU_DEP_1)
	v_dual_mov_b32 v5, v7 :: v_dual_mov_b32 v6, v8
	v_dual_mov_b32 v7, v2 :: v_dual_mov_b32 v8, v3
; %bb.13:                               ;   in Loop: Header=BB0_8 Depth=1
	s_or_b32 exec_lo, exec_lo, s1
.LBB0_14:                               ;   in Loop: Header=BB0_8 Depth=1
	s_and_not1_saveexec_b32 s0, s0
	s_cbranch_execz .LBB0_18
; %bb.15:                               ;   in Loop: Header=BB0_8 Depth=1
	s_mov_b32 s1, exec_lo
	v_cmpx_eq_u32_e32 1, v25
; %bb.16:                               ;   in Loop: Header=BB0_8 Depth=1
	v_dual_mov_b32 v5, v6 :: v_dual_mov_b32 v6, v7
	v_dual_mov_b32 v7, v8 :: v_dual_mov_b32 v8, v2
; %bb.17:                               ;   in Loop: Header=BB0_8 Depth=1
	s_or_b32 exec_lo, exec_lo, s1
.LBB0_18:                               ;   in Loop: Header=BB0_8 Depth=1
	s_delay_alu instid0(SALU_CYCLE_1) | instskip(NEXT) | instid1(VALU_DEP_2)
	s_or_b32 exec_lo, exec_lo, s0
	v_mov_b32_e32 v0, v6
	s_mov_b32 s29, s15
	s_delay_alu instid0(VALU_DEP_1) | instskip(NEXT) | instid1(VALU_DEP_1)
	v_lshlrev_b64 v[15:16], 21, v[0:1]
	v_cvt_f64_u32_e32 v[16:17], v16
	s_delay_alu instid0(VALU_DEP_2) | instskip(NEXT) | instid1(VALU_DEP_1)
	v_xor_b32_e32 v0, v15, v5
	v_cvt_f64_u32_e32 v[5:6], v0
	s_delay_alu instid0(VALU_DEP_3) | instskip(SKIP_1) | instid1(VALU_DEP_2)
	v_ldexp_f64 v[15:16], v[16:17], 32
	v_mov_b32_e32 v17, v1
	v_add_f64 v[5:6], v[15:16], v[5:6]
	s_delay_alu instid0(VALU_DEP_1) | instskip(NEXT) | instid1(VALU_DEP_1)
	v_fma_f64 v[15:16], 0x3ca00000, v[5:6], 0x3ca00000
	v_frexp_mant_f64_e32 v[5:6], v[15:16]
	v_frexp_exp_i32_f64_e32 v0, v[15:16]
	v_cmp_eq_f64_e64 s0, 0x7ff00000, v[15:16]
	s_delay_alu instid0(VALU_DEP_3) | instskip(SKIP_1) | instid1(VALU_DEP_4)
	v_cmp_gt_f64_e32 vcc_lo, s[14:15], v[5:6]
	v_cndmask_b32_e64 v18, 0x3ff00000, 2.0, vcc_lo
	v_subrev_co_ci_u32_e32 v0, vcc_lo, 0, v0, vcc_lo
	s_delay_alu instid0(VALU_DEP_2) | instskip(NEXT) | instid1(VALU_DEP_1)
	v_mul_f64 v[5:6], v[5:6], v[17:18]
	v_add_f64 v[17:18], v[5:6], 1.0
	v_add_f64 v[48:49], v[5:6], -1.0
	s_delay_alu instid0(VALU_DEP_2) | instskip(SKIP_1) | instid1(VALU_DEP_1)
	v_rcp_f64_e32 v[44:45], v[17:18]
	v_add_f64 v[50:51], v[17:18], -1.0
	v_add_f64 v[5:6], v[5:6], -v[50:51]
	s_waitcnt_depctr 0xfff
	v_fma_f64 v[46:47], -v[17:18], v[44:45], 1.0
	s_delay_alu instid0(VALU_DEP_1) | instskip(NEXT) | instid1(VALU_DEP_1)
	v_fma_f64 v[44:45], v[46:47], v[44:45], v[44:45]
	v_fma_f64 v[46:47], -v[17:18], v[44:45], 1.0
	s_delay_alu instid0(VALU_DEP_1) | instskip(NEXT) | instid1(VALU_DEP_1)
	v_fma_f64 v[44:45], v[46:47], v[44:45], v[44:45]
	v_mul_f64 v[46:47], v[48:49], v[44:45]
	s_delay_alu instid0(VALU_DEP_1) | instskip(NEXT) | instid1(VALU_DEP_1)
	v_mul_f64 v[52:53], v[17:18], v[46:47]
	v_fma_f64 v[17:18], v[46:47], v[17:18], -v[52:53]
	s_delay_alu instid0(VALU_DEP_1) | instskip(NEXT) | instid1(VALU_DEP_1)
	v_fma_f64 v[5:6], v[46:47], v[5:6], v[17:18]
	v_add_f64 v[17:18], v[52:53], v[5:6]
	s_delay_alu instid0(VALU_DEP_1) | instskip(SKIP_1) | instid1(VALU_DEP_2)
	v_add_f64 v[50:51], v[48:49], -v[17:18]
	v_add_f64 v[52:53], v[17:18], -v[52:53]
	;; [unrolled: 1-line block ×3, first 2 shown]
	s_delay_alu instid0(VALU_DEP_2) | instskip(NEXT) | instid1(VALU_DEP_2)
	v_add_f64 v[5:6], v[52:53], -v[5:6]
	v_add_f64 v[17:18], v[48:49], -v[17:18]
	s_delay_alu instid0(VALU_DEP_1) | instskip(NEXT) | instid1(VALU_DEP_1)
	v_add_f64 v[5:6], v[5:6], v[17:18]
	v_add_f64 v[5:6], v[50:51], v[5:6]
	s_delay_alu instid0(VALU_DEP_1) | instskip(NEXT) | instid1(VALU_DEP_1)
	v_mul_f64 v[5:6], v[44:45], v[5:6]
	v_add_f64 v[17:18], v[46:47], v[5:6]
	s_delay_alu instid0(VALU_DEP_1) | instskip(NEXT) | instid1(VALU_DEP_1)
	v_mul_f64 v[44:45], v[17:18], v[17:18]
	v_fma_f64 v[48:49], v[44:45], s[18:19], s[16:17]
	v_mul_f64 v[50:51], v[17:18], v[44:45]
	s_delay_alu instid0(VALU_DEP_2) | instskip(NEXT) | instid1(VALU_DEP_1)
	v_fma_f64 v[48:49], v[44:45], v[48:49], s[20:21]
	v_fma_f64 v[48:49], v[44:45], v[48:49], s[22:23]
	s_delay_alu instid0(VALU_DEP_1) | instskip(NEXT) | instid1(VALU_DEP_1)
	v_fma_f64 v[48:49], v[44:45], v[48:49], s[24:25]
	v_fma_f64 v[48:49], v[44:45], v[48:49], s[26:27]
	s_delay_alu instid0(VALU_DEP_1) | instskip(SKIP_3) | instid1(VALU_DEP_3)
	v_fma_f64 v[44:45], v[44:45], v[48:49], s[28:29]
	v_ldexp_f64 v[48:49], v[17:18], 1
	v_add_f64 v[17:18], v[17:18], -v[46:47]
	s_mov_b32 s29, exec_lo
	v_mul_f64 v[44:45], v[50:51], v[44:45]
	v_cvt_f64_i32_e32 v[50:51], v0
	s_delay_alu instid0(VALU_DEP_3) | instskip(SKIP_1) | instid1(VALU_DEP_1)
	v_add_f64 v[5:6], v[5:6], -v[17:18]
	v_mov_b32_e32 v0, v8
	v_lshlrev_b64 v[8:9], 21, v[0:1]
	s_delay_alu instid0(VALU_DEP_1) | instskip(NEXT) | instid1(VALU_DEP_1)
	v_xor_b32_e32 v0, v8, v7
	v_cvt_f64_u32_e32 v[7:8], v0
	v_add_f64 v[46:47], v[48:49], v[44:45]
	v_mul_f64 v[52:53], v[50:51], s[30:31]
	v_ldexp_f64 v[5:6], v[5:6], 1
	s_delay_alu instid0(VALU_DEP_3) | instskip(NEXT) | instid1(VALU_DEP_3)
	v_add_f64 v[17:18], v[46:47], -v[48:49]
	v_fma_f64 v[48:49], v[50:51], s[30:31], -v[52:53]
	s_delay_alu instid0(VALU_DEP_2) | instskip(NEXT) | instid1(VALU_DEP_2)
	v_add_f64 v[17:18], v[44:45], -v[17:18]
	v_fma_f64 v[44:45], v[50:51], s[34:35], v[48:49]
	s_delay_alu instid0(VALU_DEP_2) | instskip(NEXT) | instid1(VALU_DEP_2)
	v_add_f64 v[5:6], v[5:6], v[17:18]
	v_add_f64 v[17:18], v[52:53], v[44:45]
	s_delay_alu instid0(VALU_DEP_2) | instskip(NEXT) | instid1(VALU_DEP_2)
	v_add_f64 v[48:49], v[46:47], v[5:6]
	v_add_f64 v[52:53], v[17:18], -v[52:53]
	s_delay_alu instid0(VALU_DEP_2) | instskip(SKIP_1) | instid1(VALU_DEP_3)
	v_add_f64 v[50:51], v[17:18], v[48:49]
	v_add_f64 v[46:47], v[48:49], -v[46:47]
	v_add_f64 v[44:45], v[44:45], -v[52:53]
	s_delay_alu instid0(VALU_DEP_3) | instskip(NEXT) | instid1(VALU_DEP_3)
	v_add_f64 v[54:55], v[50:51], -v[17:18]
	v_add_f64 v[46:47], v[5:6], -v[46:47]
	s_delay_alu instid0(VALU_DEP_2) | instskip(SKIP_2) | instid1(VALU_DEP_4)
	v_add_f64 v[56:57], v[50:51], -v[54:55]
	v_add_f64 v[5:6], v[48:49], -v[54:55]
	v_cvt_f64_u32_e32 v[48:49], v9
	v_add_f64 v[52:53], v[44:45], v[46:47]
	s_delay_alu instid0(VALU_DEP_4) | instskip(NEXT) | instid1(VALU_DEP_1)
	v_add_f64 v[17:18], v[17:18], -v[56:57]
	v_add_f64 v[5:6], v[5:6], v[17:18]
	s_delay_alu instid0(VALU_DEP_4) | instskip(NEXT) | instid1(VALU_DEP_4)
	v_ldexp_f64 v[17:18], v[48:49], 32
	v_add_f64 v[48:49], v[52:53], -v[44:45]
	s_delay_alu instid0(VALU_DEP_3) | instskip(NEXT) | instid1(VALU_DEP_3)
	v_add_f64 v[54:55], v[52:53], v[5:6]
	v_add_f64 v[5:6], v[17:18], v[7:8]
	s_delay_alu instid0(VALU_DEP_3) | instskip(SKIP_1) | instid1(VALU_DEP_4)
	v_add_f64 v[7:8], v[52:53], -v[48:49]
	v_add_f64 v[46:47], v[46:47], -v[48:49]
	v_add_f64 v[17:18], v[50:51], v[54:55]
	s_delay_alu instid0(VALU_DEP_4) | instskip(NEXT) | instid1(VALU_DEP_4)
	v_fma_f64 v[5:6], 0x3cb00000, v[5:6], 0x3cb00000
	v_add_f64 v[7:8], v[44:45], -v[7:8]
	s_delay_alu instid0(VALU_DEP_3) | instskip(NEXT) | instid1(VALU_DEP_3)
	v_add_f64 v[44:45], v[17:18], -v[50:51]
	v_mul_f64 v[48:49], v[5:6], 0.5
	s_delay_alu instid0(VALU_DEP_3) | instskip(NEXT) | instid1(VALU_DEP_3)
	v_add_f64 v[7:8], v[46:47], v[7:8]
	v_add_f64 v[44:45], v[54:55], -v[44:45]
	s_delay_alu instid0(VALU_DEP_3) | instskip(SKIP_1) | instid1(VALU_DEP_3)
	v_fract_f64_e32 v[46:47], v[48:49]
	v_cmp_neq_f64_e32 vcc_lo, 0x7ff00000, v[48:49]
	v_add_f64 v[7:8], v[7:8], v[44:45]
	s_delay_alu instid0(VALU_DEP_3) | instskip(NEXT) | instid1(VALU_DEP_2)
	v_add_f64 v[44:45], v[46:47], v[46:47]
	v_add_f64 v[7:8], v[17:18], v[7:8]
	s_delay_alu instid0(VALU_DEP_2) | instskip(SKIP_1) | instid1(VALU_DEP_3)
	v_dual_cndmask_b32 v9, 0, v45 :: v_dual_cndmask_b32 v0, 0, v44
	v_cmp_lt_f64_e32 vcc_lo, 1.0, v[5:6]
	v_cndmask_b32_e64 v8, v8, v16, s0
	s_delay_alu instid0(VALU_DEP_4) | instskip(SKIP_2) | instid1(VALU_DEP_3)
	v_cndmask_b32_e64 v7, v7, v15, s0
	v_cmp_neq_f64_e64 s0, 0, v[15:16]
	v_dual_cndmask_b32 v16, v6, v9 :: v_dual_cndmask_b32 v15, v5, v0
	v_mul_f64 v[7:8], v[7:8], -2.0
	s_delay_alu instid0(VALU_DEP_2) | instskip(NEXT) | instid1(VALU_DEP_2)
	v_add_f64 v[17:18], v[15:16], v[15:16]
	v_cndmask_b32_e64 v8, 0x7ff00000, v8, s0
	s_delay_alu instid0(VALU_DEP_3) | instskip(NEXT) | instid1(VALU_DEP_3)
	v_cndmask_b32_e64 v7, 0, v7, s0
	v_rndne_f64_e32 v[17:18], v[17:18]
	s_delay_alu instid0(VALU_DEP_2) | instskip(NEXT) | instid1(VALU_DEP_2)
	v_cmp_gt_f64_e32 vcc_lo, 0x10000000, v[7:8]
	v_fma_f64 v[15:16], v[17:18], -0.5, v[15:16]
	v_cvt_i32_f64_e32 v9, v[17:18]
	v_cndmask_b32_e64 v0, 0, 1, vcc_lo
	s_delay_alu instid0(VALU_DEP_1) | instskip(NEXT) | instid1(VALU_DEP_1)
	v_lshlrev_b32_e32 v0, 8, v0
	v_ldexp_f64 v[7:8], v[7:8], v0
	v_cndmask_b32_e64 v0, 0, 0xffffff80, vcc_lo
	v_cmp_lg_f64_e32 vcc_lo, 0x7ff00000, v[5:6]
	v_mul_f64 v[48:49], v[15:16], v[15:16]
	v_and_b32_e32 v5, 1, v9
	v_rsq_f64_e32 v[44:45], v[7:8]
	v_cmp_class_f64_e64 s0, v[7:8], 0x260
	s_delay_alu instid0(VALU_DEP_3)
	v_fma_f64 v[52:53], v[48:49], s[38:39], s[36:37]
	v_fma_f64 v[54:55], v[48:49], s[52:53], s[50:51]
	v_mul_f64 v[56:57], v[15:16], v[48:49]
	s_waitcnt_depctr 0xfff
	v_mul_f64 v[46:47], v[7:8], v[44:45]
	v_mul_f64 v[44:45], v[44:45], 0.5
	v_fma_f64 v[52:53], v[48:49], v[52:53], s[40:41]
	v_fma_f64 v[54:55], v[48:49], v[54:55], s[54:55]
	s_delay_alu instid0(VALU_DEP_3) | instskip(NEXT) | instid1(VALU_DEP_3)
	v_fma_f64 v[50:51], -v[44:45], v[46:47], 0.5
	v_fma_f64 v[52:53], v[48:49], v[52:53], s[42:43]
	s_delay_alu instid0(VALU_DEP_3) | instskip(NEXT) | instid1(VALU_DEP_3)
	v_fma_f64 v[54:55], v[48:49], v[54:55], s[56:57]
	v_fma_f64 v[46:47], v[46:47], v[50:51], v[46:47]
	;; [unrolled: 1-line block ×3, first 2 shown]
	s_delay_alu instid0(VALU_DEP_2) | instskip(NEXT) | instid1(VALU_DEP_1)
	v_fma_f64 v[50:51], -v[46:47], v[46:47], v[7:8]
	v_fma_f64 v[46:47], v[50:51], v[44:45], v[46:47]
	v_fma_f64 v[50:51], v[48:49], v[52:53], s[44:45]
	;; [unrolled: 1-line block ×3, first 2 shown]
	s_delay_alu instid0(VALU_DEP_3) | instskip(NEXT) | instid1(VALU_DEP_3)
	v_fma_f64 v[54:55], -v[46:47], v[46:47], v[7:8]
	v_fma_f64 v[50:51], v[48:49], v[50:51], s[46:47]
	s_delay_alu instid0(VALU_DEP_3) | instskip(NEXT) | instid1(VALU_DEP_3)
	v_fma_f64 v[52:53], v[48:49], v[52:53], s[60:61]
	v_fma_f64 v[44:45], v[54:55], v[44:45], v[46:47]
	s_delay_alu instid0(VALU_DEP_3) | instskip(NEXT) | instid1(VALU_DEP_3)
	v_mul_f64 v[46:47], v[56:57], v[50:51]
	v_fma_f64 v[50:51], v[48:49], v[52:53], s[62:63]
	s_delay_alu instid0(VALU_DEP_3) | instskip(NEXT) | instid1(VALU_DEP_3)
	v_ldexp_f64 v[44:45], v[44:45], v0
	v_fma_f64 v[15:16], v[15:16], s[48:49], v[46:47]
	s_delay_alu instid0(VALU_DEP_3) | instskip(SKIP_1) | instid1(VALU_DEP_4)
	v_fma_f64 v[17:18], v[48:49], v[50:51], 1.0
	v_lshlrev_b32_e32 v0, 30, v9
	v_cndmask_b32_e64 v8, v45, v8, s0
	v_cndmask_b32_e64 v7, v44, v7, s0
	v_cmp_eq_u32_e64 s0, 0, v5
	v_cmpx_gt_i64_e64 s[4:5], v[12:13]
	s_cbranch_execz .LBB0_20
; %bb.19:                               ;   in Loop: Header=BB0_8 Depth=1
	v_xor_b32_e32 v5, v0, v6
	s_delay_alu instid0(VALU_DEP_3) | instskip(SKIP_4) | instid1(VALU_DEP_1)
	v_cndmask_b32_e64 v6, v18, v16, s0
	v_cndmask_b32_e64 v9, v17, v15, s0
	s_mov_b32 s86, s30
	s_mov_b32 s88, s34
	v_and_b32_e32 v5, 0x80000000, v5
	v_xor_b32_e32 v6, v6, v5
	v_cndmask_b32_e32 v5, 0, v9, vcc_lo
	s_delay_alu instid0(VALU_DEP_2) | instskip(NEXT) | instid1(VALU_DEP_1)
	v_cndmask_b32_e32 v6, 0x7ff80000, v6, vcc_lo
	v_mul_f64 v[5:6], v[7:8], v[5:6]
	s_delay_alu instid0(VALU_DEP_1) | instskip(NEXT) | instid1(VALU_DEP_1)
	v_fma_f64 v[5:6], s[10:11], v[5:6], s[8:9]
	v_mul_f64 v[44:45], v[5:6], s[64:65]
	v_cmp_nlt_f64_e64 s1, 0x40900000, v[5:6]
	v_cmp_ngt_f64_e64 s2, 0xc090cc00, v[5:6]
	s_delay_alu instid0(VALU_DEP_3) | instskip(NEXT) | instid1(VALU_DEP_1)
	v_rndne_f64_e32 v[44:45], v[44:45]
	v_fma_f64 v[46:47], v[44:45], s[86:87], v[5:6]
	v_cvt_i32_f64_e32 v9, v[44:45]
	v_add_nc_u32_e32 v5, s93, v40
	s_delay_alu instid0(VALU_DEP_1) | instskip(SKIP_1) | instid1(VALU_DEP_1)
	v_ashrrev_i32_e32 v6, 31, v5
	v_add_co_u32 v5, s3, s12, v5
	v_add_co_ci_u32_e64 v6, s3, s13, v6, s3
	v_fma_f64 v[46:47], v[44:45], s[88:89], v[46:47]
	s_delay_alu instid0(VALU_DEP_1) | instskip(NEXT) | instid1(VALU_DEP_1)
	v_fma_f64 v[48:49], v[46:47], s[68:69], s[66:67]
	v_fma_f64 v[48:49], v[46:47], v[48:49], s[70:71]
	s_delay_alu instid0(VALU_DEP_1) | instskip(NEXT) | instid1(VALU_DEP_1)
	v_fma_f64 v[48:49], v[46:47], v[48:49], s[72:73]
	;; [unrolled: 3-line block ×5, first 2 shown]
	v_fma_f64 v[48:49], v[46:47], v[48:49], 1.0
	s_delay_alu instid0(VALU_DEP_1) | instskip(NEXT) | instid1(VALU_DEP_1)
	v_fma_f64 v[44:45], v[46:47], v[48:49], 1.0
	v_ldexp_f64 v[44:45], v[44:45], v9
	s_delay_alu instid0(VALU_DEP_1)
	v_cndmask_b32_e64 v9, 0x7ff00000, v45, s1
	s_and_b32 s1, s2, s1
	s_delay_alu instid0(VALU_DEP_2) | instid1(SALU_CYCLE_1)
	v_cndmask_b32_e64 v44, 0, v44, s1
	s_delay_alu instid0(VALU_DEP_2)
	v_cndmask_b32_e64 v45, 0, v9, s2
	global_store_b64 v[5:6], v[44:45], off
.LBB0_20:                               ;   in Loop: Header=BB0_8 Depth=1
	s_or_b32 exec_lo, exec_lo, s29
	v_add_co_u32 v5, s1, s33, v12
	s_delay_alu instid0(VALU_DEP_1) | instskip(SKIP_1) | instid1(VALU_DEP_1)
	v_add_co_ci_u32_e64 v6, s1, 0, v13, s1
	s_mov_b32 s2, exec_lo
	v_cmpx_gt_i64_e64 s[4:5], v[5:6]
	s_cbranch_execz .LBB0_7
; %bb.21:                               ;   in Loop: Header=BB0_8 Depth=1
	v_xor_b32_e32 v5, 0x80000000, v16
	v_cndmask_b32_e64 v6, v15, v17, s0
	v_and_b32_e32 v0, 0x80000000, v0
	s_mov_b32 s86, s30
	s_mov_b32 s88, s34
	v_cndmask_b32_e64 v5, v5, v18, s0
	s_delay_alu instid0(VALU_DEP_1) | instskip(SKIP_1) | instid1(VALU_DEP_2)
	v_xor_b32_e32 v0, v5, v0
	v_cndmask_b32_e32 v5, 0, v6, vcc_lo
	v_cndmask_b32_e32 v6, 0x7ff80000, v0, vcc_lo
	s_delay_alu instid0(VALU_DEP_1) | instskip(NEXT) | instid1(VALU_DEP_1)
	v_mul_f64 v[5:6], v[7:8], v[5:6]
	v_fma_f64 v[5:6], s[10:11], v[5:6], s[8:9]
	s_delay_alu instid0(VALU_DEP_1) | instskip(SKIP_2) | instid1(VALU_DEP_3)
	v_mul_f64 v[7:8], v[5:6], s[64:65]
	v_cmp_nlt_f64_e32 vcc_lo, 0x40900000, v[5:6]
	v_cmp_ngt_f64_e64 s0, 0xc090cc00, v[5:6]
	v_rndne_f64_e32 v[7:8], v[7:8]
	s_delay_alu instid0(VALU_DEP_1) | instskip(SKIP_2) | instid1(VALU_DEP_1)
	v_fma_f64 v[15:16], v[7:8], s[86:87], v[5:6]
	v_cvt_i32_f64_e32 v0, v[7:8]
	v_add_nc_u32_e32 v5, s93, v41
	v_ashrrev_i32_e32 v6, 31, v5
	v_add_co_u32 v5, s1, s12, v5
	s_delay_alu instid0(VALU_DEP_1) | instskip(SKIP_1) | instid1(VALU_DEP_1)
	v_add_co_ci_u32_e64 v6, s1, s13, v6, s1
	v_fma_f64 v[15:16], v[7:8], s[88:89], v[15:16]
	v_fma_f64 v[17:18], v[15:16], s[68:69], s[66:67]
	s_delay_alu instid0(VALU_DEP_1) | instskip(NEXT) | instid1(VALU_DEP_1)
	v_fma_f64 v[17:18], v[15:16], v[17:18], s[70:71]
	v_fma_f64 v[17:18], v[15:16], v[17:18], s[72:73]
	s_delay_alu instid0(VALU_DEP_1) | instskip(NEXT) | instid1(VALU_DEP_1)
	;; [unrolled: 3-line block ×5, first 2 shown]
	v_fma_f64 v[17:18], v[15:16], v[17:18], 1.0
	v_fma_f64 v[7:8], v[15:16], v[17:18], 1.0
	s_delay_alu instid0(VALU_DEP_1) | instskip(NEXT) | instid1(VALU_DEP_1)
	v_ldexp_f64 v[7:8], v[7:8], v0
	v_cndmask_b32_e32 v0, 0x7ff00000, v8, vcc_lo
	s_and_b32 vcc_lo, s0, vcc_lo
	s_delay_alu instid0(VALU_DEP_2) | instskip(NEXT) | instid1(VALU_DEP_2)
	v_cndmask_b32_e32 v7, 0, v7, vcc_lo
	v_cndmask_b32_e64 v8, 0, v0, s0
	global_store_b64 v[5:6], v[7:8], off
	s_branch .LBB0_7
.LBB0_22:
	s_endpgm
.LBB0_23:
                                        ; implicit-def: $sgpr2_sgpr3
	s_branch .LBB0_4
	.section	.rodata,"a",@progbits
	.p2align	6, 0x0
	.amdhsa_kernel _ZN2at6native12_GLOBAL__N_143distribution_elementwise_grid_stride_kernelIdLi2EZNS0_9templates4cuda20normal_and_transformIddPNS_17CUDAGeneratorImplEZZZNS4_17log_normal_kernelIS7_EEvRNS_18TensorIteratorBaseEddT_ENKUlvE_clEvENKUlvE_clEvEUldE_EEvSA_T1_T2_EUlP25hiprandStatePhilox4_32_10E_ZNS1_27distribution_nullary_kernelIdd15HIP_vector_typeIdLj2EES7_SJ_SE_EEvSA_SG_RKT3_T4_EUlidE_EEvlNS_15PhiloxCudaStateESF_SG_
		.amdhsa_group_segment_fixed_size 0
		.amdhsa_private_segment_fixed_size 0
		.amdhsa_kernarg_size 336
		.amdhsa_user_sgpr_count 15
		.amdhsa_user_sgpr_dispatch_ptr 0
		.amdhsa_user_sgpr_queue_ptr 0
		.amdhsa_user_sgpr_kernarg_segment_ptr 1
		.amdhsa_user_sgpr_dispatch_id 0
		.amdhsa_user_sgpr_private_segment_size 0
		.amdhsa_wavefront_size32 1
		.amdhsa_uses_dynamic_stack 0
		.amdhsa_enable_private_segment 0
		.amdhsa_system_sgpr_workgroup_id_x 1
		.amdhsa_system_sgpr_workgroup_id_y 0
		.amdhsa_system_sgpr_workgroup_id_z 0
		.amdhsa_system_sgpr_workgroup_info 0
		.amdhsa_system_vgpr_workitem_id 0
		.amdhsa_next_free_vgpr 58
		.amdhsa_next_free_sgpr 94
		.amdhsa_reserve_vcc 1
		.amdhsa_float_round_mode_32 0
		.amdhsa_float_round_mode_16_64 0
		.amdhsa_float_denorm_mode_32 3
		.amdhsa_float_denorm_mode_16_64 3
		.amdhsa_dx10_clamp 1
		.amdhsa_ieee_mode 1
		.amdhsa_fp16_overflow 0
		.amdhsa_workgroup_processor_mode 1
		.amdhsa_memory_ordered 1
		.amdhsa_forward_progress 0
		.amdhsa_shared_vgpr_count 0
		.amdhsa_exception_fp_ieee_invalid_op 0
		.amdhsa_exception_fp_denorm_src 0
		.amdhsa_exception_fp_ieee_div_zero 0
		.amdhsa_exception_fp_ieee_overflow 0
		.amdhsa_exception_fp_ieee_underflow 0
		.amdhsa_exception_fp_ieee_inexact 0
		.amdhsa_exception_int_div_zero 0
	.end_amdhsa_kernel
	.section	.text._ZN2at6native12_GLOBAL__N_143distribution_elementwise_grid_stride_kernelIdLi2EZNS0_9templates4cuda20normal_and_transformIddPNS_17CUDAGeneratorImplEZZZNS4_17log_normal_kernelIS7_EEvRNS_18TensorIteratorBaseEddT_ENKUlvE_clEvENKUlvE_clEvEUldE_EEvSA_T1_T2_EUlP25hiprandStatePhilox4_32_10E_ZNS1_27distribution_nullary_kernelIdd15HIP_vector_typeIdLj2EES7_SJ_SE_EEvSA_SG_RKT3_T4_EUlidE_EEvlNS_15PhiloxCudaStateESF_SG_,"axG",@progbits,_ZN2at6native12_GLOBAL__N_143distribution_elementwise_grid_stride_kernelIdLi2EZNS0_9templates4cuda20normal_and_transformIddPNS_17CUDAGeneratorImplEZZZNS4_17log_normal_kernelIS7_EEvRNS_18TensorIteratorBaseEddT_ENKUlvE_clEvENKUlvE_clEvEUldE_EEvSA_T1_T2_EUlP25hiprandStatePhilox4_32_10E_ZNS1_27distribution_nullary_kernelIdd15HIP_vector_typeIdLj2EES7_SJ_SE_EEvSA_SG_RKT3_T4_EUlidE_EEvlNS_15PhiloxCudaStateESF_SG_,comdat
.Lfunc_end0:
	.size	_ZN2at6native12_GLOBAL__N_143distribution_elementwise_grid_stride_kernelIdLi2EZNS0_9templates4cuda20normal_and_transformIddPNS_17CUDAGeneratorImplEZZZNS4_17log_normal_kernelIS7_EEvRNS_18TensorIteratorBaseEddT_ENKUlvE_clEvENKUlvE_clEvEUldE_EEvSA_T1_T2_EUlP25hiprandStatePhilox4_32_10E_ZNS1_27distribution_nullary_kernelIdd15HIP_vector_typeIdLj2EES7_SJ_SE_EEvSA_SG_RKT3_T4_EUlidE_EEvlNS_15PhiloxCudaStateESF_SG_, .Lfunc_end0-_ZN2at6native12_GLOBAL__N_143distribution_elementwise_grid_stride_kernelIdLi2EZNS0_9templates4cuda20normal_and_transformIddPNS_17CUDAGeneratorImplEZZZNS4_17log_normal_kernelIS7_EEvRNS_18TensorIteratorBaseEddT_ENKUlvE_clEvENKUlvE_clEvEUldE_EEvSA_T1_T2_EUlP25hiprandStatePhilox4_32_10E_ZNS1_27distribution_nullary_kernelIdd15HIP_vector_typeIdLj2EES7_SJ_SE_EEvSA_SG_RKT3_T4_EUlidE_EEvlNS_15PhiloxCudaStateESF_SG_
                                        ; -- End function
	.section	.AMDGPU.csdata,"",@progbits
; Kernel info:
; codeLenInByte = 5092
; NumSgprs: 96
; NumVgprs: 58
; ScratchSize: 0
; MemoryBound: 0
; FloatMode: 240
; IeeeMode: 1
; LDSByteSize: 0 bytes/workgroup (compile time only)
; SGPRBlocks: 11
; VGPRBlocks: 7
; NumSGPRsForWavesPerEU: 96
; NumVGPRsForWavesPerEU: 58
; Occupancy: 16
; WaveLimiterHint : 0
; COMPUTE_PGM_RSRC2:SCRATCH_EN: 0
; COMPUTE_PGM_RSRC2:USER_SGPR: 15
; COMPUTE_PGM_RSRC2:TRAP_HANDLER: 0
; COMPUTE_PGM_RSRC2:TGID_X_EN: 1
; COMPUTE_PGM_RSRC2:TGID_Y_EN: 0
; COMPUTE_PGM_RSRC2:TGID_Z_EN: 0
; COMPUTE_PGM_RSRC2:TIDIG_COMP_CNT: 0
	.section	.text._ZN2at6native12_GLOBAL__N_143distribution_elementwise_grid_stride_kernelIdLi2EZNS0_9templates4cuda20normal_and_transformIddPNS_17CUDAGeneratorImplEZZZNS4_17log_normal_kernelIS7_EEvRNS_18TensorIteratorBaseEddT_ENKUlvE_clEvENKUlvE_clEvEUldE_EEvSA_T1_T2_EUlP25hiprandStatePhilox4_32_10E_ZNS1_27distribution_nullary_kernelIdd15HIP_vector_typeIdLj2EES7_SJ_SE_EEvSA_SG_RKT3_T4_EUlidE0_EEvlNS_15PhiloxCudaStateESF_SG_,"axG",@progbits,_ZN2at6native12_GLOBAL__N_143distribution_elementwise_grid_stride_kernelIdLi2EZNS0_9templates4cuda20normal_and_transformIddPNS_17CUDAGeneratorImplEZZZNS4_17log_normal_kernelIS7_EEvRNS_18TensorIteratorBaseEddT_ENKUlvE_clEvENKUlvE_clEvEUldE_EEvSA_T1_T2_EUlP25hiprandStatePhilox4_32_10E_ZNS1_27distribution_nullary_kernelIdd15HIP_vector_typeIdLj2EES7_SJ_SE_EEvSA_SG_RKT3_T4_EUlidE0_EEvlNS_15PhiloxCudaStateESF_SG_,comdat
	.globl	_ZN2at6native12_GLOBAL__N_143distribution_elementwise_grid_stride_kernelIdLi2EZNS0_9templates4cuda20normal_and_transformIddPNS_17CUDAGeneratorImplEZZZNS4_17log_normal_kernelIS7_EEvRNS_18TensorIteratorBaseEddT_ENKUlvE_clEvENKUlvE_clEvEUldE_EEvSA_T1_T2_EUlP25hiprandStatePhilox4_32_10E_ZNS1_27distribution_nullary_kernelIdd15HIP_vector_typeIdLj2EES7_SJ_SE_EEvSA_SG_RKT3_T4_EUlidE0_EEvlNS_15PhiloxCudaStateESF_SG_ ; -- Begin function _ZN2at6native12_GLOBAL__N_143distribution_elementwise_grid_stride_kernelIdLi2EZNS0_9templates4cuda20normal_and_transformIddPNS_17CUDAGeneratorImplEZZZNS4_17log_normal_kernelIS7_EEvRNS_18TensorIteratorBaseEddT_ENKUlvE_clEvENKUlvE_clEvEUldE_EEvSA_T1_T2_EUlP25hiprandStatePhilox4_32_10E_ZNS1_27distribution_nullary_kernelIdd15HIP_vector_typeIdLj2EES7_SJ_SE_EEvSA_SG_RKT3_T4_EUlidE0_EEvlNS_15PhiloxCudaStateESF_SG_
	.p2align	8
	.type	_ZN2at6native12_GLOBAL__N_143distribution_elementwise_grid_stride_kernelIdLi2EZNS0_9templates4cuda20normal_and_transformIddPNS_17CUDAGeneratorImplEZZZNS4_17log_normal_kernelIS7_EEvRNS_18TensorIteratorBaseEddT_ENKUlvE_clEvENKUlvE_clEvEUldE_EEvSA_T1_T2_EUlP25hiprandStatePhilox4_32_10E_ZNS1_27distribution_nullary_kernelIdd15HIP_vector_typeIdLj2EES7_SJ_SE_EEvSA_SG_RKT3_T4_EUlidE0_EEvlNS_15PhiloxCudaStateESF_SG_,@function
_ZN2at6native12_GLOBAL__N_143distribution_elementwise_grid_stride_kernelIdLi2EZNS0_9templates4cuda20normal_and_transformIddPNS_17CUDAGeneratorImplEZZZNS4_17log_normal_kernelIS7_EEvRNS_18TensorIteratorBaseEddT_ENKUlvE_clEvENKUlvE_clEvEUldE_EEvSA_T1_T2_EUlP25hiprandStatePhilox4_32_10E_ZNS1_27distribution_nullary_kernelIdd15HIP_vector_typeIdLj2EES7_SJ_SE_EEvSA_SG_RKT3_T4_EUlidE0_EEvlNS_15PhiloxCudaStateESF_SG_: ; @_ZN2at6native12_GLOBAL__N_143distribution_elementwise_grid_stride_kernelIdLi2EZNS0_9templates4cuda20normal_and_transformIddPNS_17CUDAGeneratorImplEZZZNS4_17log_normal_kernelIS7_EEvRNS_18TensorIteratorBaseEddT_ENKUlvE_clEvENKUlvE_clEvEUldE_EEvSA_T1_T2_EUlP25hiprandStatePhilox4_32_10E_ZNS1_27distribution_nullary_kernelIdd15HIP_vector_typeIdLj2EES7_SJ_SE_EEvSA_SG_RKT3_T4_EUlidE0_EEvlNS_15PhiloxCudaStateESF_SG_
; %bb.0:
	s_clause 0x2
	s_load_b64 s[4:5], s[0:1], 0x10
	s_load_b128 s[16:19], s[0:1], 0x0
	s_load_b32 s2, s[0:1], 0x20
	s_waitcnt lgkmcnt(0)
	v_dual_mov_b32 v2, s4 :: v_dual_mov_b32 v3, s5
	v_dual_mov_b32 v10, s18 :: v_dual_mov_b32 v11, s19
	s_bitcmp0_b32 s2, 0
	s_mov_b32 s2, 0
	s_cbranch_scc1 .LBB1_2
; %bb.1:
	v_dual_mov_b32 v1, s4 :: v_dual_mov_b32 v2, s5
	v_dual_mov_b32 v4, s18 :: v_dual_mov_b32 v5, s19
	s_load_b64 s[4:5], s[0:1], 0x18
	flat_load_b64 v[2:3], v[1:2]
	flat_load_b64 v[10:11], v[4:5]
	s_waitcnt vmcnt(1) lgkmcnt(0)
	v_add_co_u32 v2, vcc_lo, v2, s4
	v_add_co_ci_u32_e32 v3, vcc_lo, s5, v3, vcc_lo
.LBB1_2:
	s_clause 0x1
	s_load_b32 s3, s[0:1], 0x15c
	s_load_b32 s4, s[0:1], 0x150
	s_waitcnt lgkmcnt(0)
	s_and_b32 s5, s3, 0xffff
	s_add_u32 s6, s16, -1
	s_mul_i32 s33, s4, s5
	s_addc_u32 s3, s17, -1
	s_lshl_b32 s104, s33, 1
	s_cmp_lg_u64 s[2:3], 0
	s_cbranch_scc0 .LBB1_51
; %bb.3:
	v_cvt_f32_ubyte0_e32 v1, 0
	v_cvt_f32_u32_e32 v4, s104
	s_sub_u32 s8, 0, s104
	s_subb_u32 s9, 0, 0
	s_delay_alu instid0(VALU_DEP_1) | instskip(NEXT) | instid1(VALU_DEP_1)
	v_fmamk_f32 v1, v1, 0x4f800000, v4
	v_rcp_f32_e32 v1, v1
	s_waitcnt_depctr 0xfff
	v_mul_f32_e32 v1, 0x5f7ffffc, v1
	s_delay_alu instid0(VALU_DEP_1) | instskip(NEXT) | instid1(VALU_DEP_1)
	v_mul_f32_e32 v4, 0x2f800000, v1
	v_trunc_f32_e32 v4, v4
	s_delay_alu instid0(VALU_DEP_1) | instskip(SKIP_1) | instid1(VALU_DEP_2)
	v_fmamk_f32 v1, v4, 0xcf800000, v1
	v_cvt_u32_f32_e32 v4, v4
	v_cvt_u32_f32_e32 v1, v1
	s_delay_alu instid0(VALU_DEP_2) | instskip(NEXT) | instid1(VALU_DEP_2)
	v_readfirstlane_b32 s2, v4
	v_readfirstlane_b32 s7, v1
	s_delay_alu instid0(VALU_DEP_2) | instskip(NEXT) | instid1(VALU_DEP_1)
	s_mul_i32 s10, s8, s2
	s_mul_hi_u32 s12, s8, s7
	s_mul_i32 s11, s9, s7
	s_add_i32 s10, s12, s10
	s_mul_i32 s13, s8, s7
	s_add_i32 s10, s10, s11
	s_mul_hi_u32 s12, s7, s13
	s_mul_hi_u32 s14, s2, s13
	s_mul_i32 s11, s2, s13
	s_mul_hi_u32 s13, s7, s10
	s_mul_i32 s7, s7, s10
	s_mul_hi_u32 s18, s2, s10
	s_add_u32 s7, s12, s7
	s_addc_u32 s12, 0, s13
	s_add_u32 s7, s7, s11
	s_mul_i32 s10, s2, s10
	s_addc_u32 s7, s12, s14
	s_addc_u32 s11, s18, 0
	s_add_u32 s7, s7, s10
	s_addc_u32 s10, 0, s11
	v_add_co_u32 v1, s7, v1, s7
	s_delay_alu instid0(VALU_DEP_1) | instskip(SKIP_1) | instid1(VALU_DEP_1)
	s_cmp_lg_u32 s7, 0
	s_addc_u32 s2, s2, s10
	v_readfirstlane_b32 s7, v1
	s_mul_i32 s10, s8, s2
	s_delay_alu instid0(VALU_DEP_1)
	s_mul_hi_u32 s11, s8, s7
	s_mul_i32 s9, s9, s7
	s_add_i32 s10, s11, s10
	s_mul_i32 s8, s8, s7
	s_add_i32 s10, s10, s9
	s_mul_hi_u32 s11, s2, s8
	s_mul_i32 s12, s2, s8
	s_mul_hi_u32 s8, s7, s8
	s_mul_hi_u32 s13, s7, s10
	s_mul_i32 s7, s7, s10
	s_mul_hi_u32 s9, s2, s10
	s_add_u32 s7, s8, s7
	s_addc_u32 s8, 0, s13
	s_add_u32 s7, s7, s12
	s_mul_i32 s10, s2, s10
	s_addc_u32 s7, s8, s11
	s_addc_u32 s8, s9, 0
	s_add_u32 s7, s7, s10
	s_addc_u32 s8, 0, s8
	v_add_co_u32 v1, s7, v1, s7
	s_delay_alu instid0(VALU_DEP_1) | instskip(SKIP_2) | instid1(VALU_DEP_1)
	s_cmp_lg_u32 s7, 0
	s_addc_u32 s7, s2, s8
	s_ashr_i32 s8, s3, 31
	v_readfirstlane_b32 s10, v1
	s_add_u32 s2, s6, s8
	s_mov_b32 s9, s8
	s_addc_u32 s3, s3, s8
	s_delay_alu instid0(SALU_CYCLE_1) | instskip(NEXT) | instid1(SALU_CYCLE_1)
	s_xor_b64 s[2:3], s[2:3], s[8:9]
	s_mul_i32 s12, s2, s7
	s_mul_hi_u32 s13, s2, s10
	s_mul_hi_u32 s11, s2, s7
	;; [unrolled: 1-line block ×3, first 2 shown]
	s_mul_i32 s10, s3, s10
	s_add_u32 s12, s13, s12
	s_addc_u32 s11, 0, s11
	s_mul_hi_u32 s14, s3, s7
	s_add_u32 s10, s12, s10
	s_mul_i32 s7, s3, s7
	s_addc_u32 s10, s11, s18
	s_addc_u32 s11, s14, 0
	s_add_u32 s7, s10, s7
	s_addc_u32 s10, 0, s11
	s_mul_i32 s12, s104, s7
	s_add_u32 s11, s7, 1
	v_sub_co_u32 v1, s2, s2, s12
	s_mul_hi_u32 s12, s104, s7
	s_addc_u32 s13, s10, 0
	s_mul_i32 s14, s104, s10
	s_delay_alu instid0(VALU_DEP_1)
	v_sub_co_u32 v4, s18, v1, s104
	s_add_u32 s19, s7, 2
	s_addc_u32 s20, s10, 0
	s_add_i32 s12, s12, s14
	s_cmp_lg_u32 s2, 0
	v_readfirstlane_b32 s2, v4
	s_subb_u32 s3, s3, s12
	s_cmp_lg_u32 s18, 0
	s_subb_u32 s12, s3, 0
	s_delay_alu instid0(VALU_DEP_1) | instskip(SKIP_4) | instid1(SALU_CYCLE_1)
	s_cmp_ge_u32 s2, s104
	s_cselect_b32 s2, -1, 0
	s_cmp_eq_u32 s12, 0
	v_readfirstlane_b32 s12, v1
	s_cselect_b32 s2, s2, -1
	s_cmp_lg_u32 s2, 0
	s_cselect_b32 s2, s19, s11
	s_cselect_b32 s11, s20, s13
	s_cmp_ge_u32 s12, s104
	s_cselect_b32 s12, -1, 0
	s_cmp_eq_u32 s3, 0
	s_cselect_b32 s3, s12, -1
	s_delay_alu instid0(SALU_CYCLE_1) | instskip(SKIP_2) | instid1(SALU_CYCLE_1)
	s_cmp_lg_u32 s3, 0
	s_cselect_b32 s3, s11, s10
	s_cselect_b32 s2, s2, s7
	s_xor_b64 s[2:3], s[2:3], s[8:9]
	s_delay_alu instid0(SALU_CYCLE_1)
	s_sub_u32 s2, s2, s8
	s_subb_u32 s3, s3, s8
	s_cbranch_execnz .LBB1_5
.LBB1_4:
	v_cvt_f32_u32_e32 v1, s104
	s_sub_i32 s3, 0, s104
	s_delay_alu instid0(VALU_DEP_1) | instskip(SKIP_2) | instid1(VALU_DEP_1)
	v_rcp_iflag_f32_e32 v1, v1
	s_waitcnt_depctr 0xfff
	v_mul_f32_e32 v1, 0x4f7ffffe, v1
	v_cvt_u32_f32_e32 v1, v1
	s_delay_alu instid0(VALU_DEP_1) | instskip(NEXT) | instid1(VALU_DEP_1)
	v_readfirstlane_b32 s2, v1
	s_mul_i32 s3, s3, s2
	s_delay_alu instid0(SALU_CYCLE_1) | instskip(NEXT) | instid1(SALU_CYCLE_1)
	s_mul_hi_u32 s3, s2, s3
	s_add_i32 s2, s2, s3
	s_delay_alu instid0(SALU_CYCLE_1) | instskip(NEXT) | instid1(SALU_CYCLE_1)
	s_mul_hi_u32 s2, s6, s2
	s_mul_i32 s3, s2, s104
	s_delay_alu instid0(SALU_CYCLE_1)
	s_sub_i32 s3, s6, s3
	s_add_i32 s6, s2, 1
	s_sub_i32 s7, s3, s104
	s_cmp_ge_u32 s3, s104
	s_cselect_b32 s2, s6, s2
	s_cselect_b32 s3, s7, s3
	s_add_i32 s6, s2, 1
	s_cmp_ge_u32 s3, s104
	s_mov_b32 s3, 0
	s_cselect_b32 s2, s6, s2
.LBB1_5:
	v_mov_b32_e32 v1, 0
	s_add_u32 s2, s2, 1
	s_addc_u32 s3, s3, 0
	s_mul_hi_u32 s6, s33, s2
	s_mul_i32 s3, s33, s3
	v_mad_u64_u32 v[12:13], null, s5, s15, v[0:1]
	s_mul_hi_u32 s4, s4, s5
	s_add_i32 s3, s6, s3
	s_mul_i32 s4, s4, s2
	s_mul_i32 s2, s33, s2
	s_add_i32 s3, s3, s4
	s_delay_alu instid0(SALU_CYCLE_1)
	s_lshl_b64 s[18:19], s[2:3], 1
	s_mov_b32 s2, exec_lo
	v_cmpx_gt_i64_e64 s[18:19], v[12:13]
	s_cbranch_execz .LBB1_50
; %bb.6:
	v_alignbit_b32 v19, v3, v2, 2
	v_mad_u64_u32 v[6:7], null, 0xcd9e8d57, v12, 0
	v_lshrrev_b32_e32 v20, 2, v3
	s_waitcnt vmcnt(0)
	v_dual_mov_b32 v16, v11 :: v_dual_add_nc_u32 v25, 0x96a522ad, v11
	v_mad_u64_u32 v[4:5], null, 0xd2511f53, v19, 0
	v_add_co_u32 v23, null, 0x9e3779b9, v10
	v_xor3_b32 v3, v10, v7, v20
	s_delay_alu instid0(VALU_DEP_4) | instskip(SKIP_2) | instid1(VALU_DEP_4)
	v_add_co_u32 v21, null, 0xbb67ae85, v16
	v_dual_mov_b32 v41, v13 :: v_dual_and_b32 v22, 3, v2
	v_xor_b32_e32 v0, v5, v11
	v_mad_u64_u32 v[7:8], null, 0xd2511f53, v3, 0
	v_add_co_u32 v26, null, 0x3c6ef372, v10
	s_delay_alu instid0(VALU_DEP_3) | instskip(SKIP_2) | instid1(VALU_DEP_3)
	v_xor_b32_e32 v0, v0, v13
	v_add_co_u32 v27, null, 0x76cf5d0a, v16
	v_add_co_u32 v30, null, 0x32370b8f, v16
	v_mad_u64_u32 v[14:15], null, 0xcd9e8d57, v0, 0
	v_xor3_b32 v0, v21, v8, v4
	v_add_co_u32 v31, null, 0xdaa66d2b, v10
	v_add_co_u32 v32, null, 0x78dde6e4, v10
	s_delay_alu instid0(VALU_DEP_3) | instskip(SKIP_3) | instid1(VALU_DEP_3)
	v_mad_u64_u32 v[2:3], null, 0xcd9e8d57, v0, 0
	v_xor3_b32 v6, v23, v15, v6
	v_add_co_u32 v35, null, 0xed9eba14, v16
	v_add_co_u32 v29, null, 0x1715609d, v10
	v_mad_u64_u32 v[4:5], null, 0xd2511f53, v6, 0
	v_xor3_b32 v0, v26, v3, v14
	v_add_co_u32 v36, null, 0xa9066899, v16
	s_load_b256 s[4:11], s[0:1], 0x30
	v_add_co_u32 v33, null, 0xb54cda56, v10
	s_delay_alu instid0(VALU_DEP_4) | instskip(SKIP_2) | instid1(VALU_DEP_3)
	v_xor3_b32 v3, v27, v5, v7
	v_mad_u64_u32 v[5:6], null, 0xd2511f53, v0, 0
	v_add_co_u32 v37, null, 0x646e171e, v16
	v_mad_u64_u32 v[7:8], null, 0xcd9e8d57, v3, 0
	s_add_u32 s20, s0, 48
	s_load_b64 s[40:41], s[0:1], 0x148
	s_delay_alu instid0(VALU_DEP_3) | instskip(SKIP_2) | instid1(VALU_DEP_3)
	v_xor3_b32 v0, v30, v6, v4
	s_addc_u32 s21, s1, 0
	v_add_co_u32 v28, null, 0x5384540f, v10
	v_xor3_b32 v4, v31, v8, v2
	s_delay_alu instid0(VALU_DEP_3) | instskip(SKIP_1) | instid1(VALU_DEP_3)
	v_mad_u64_u32 v[2:3], null, 0xcd9e8d57, v0, 0
	v_add_co_u32 v38, null, 0x1fd5c5a3, v16
	v_mad_u64_u32 v[8:9], null, 0xd2511f53, v4, 0
	s_waitcnt lgkmcnt(0)
	s_add_i32 s2, s4, -1
	s_clause 0x1
	s_load_b64 s[42:43], s[0:1], 0xf4
	s_load_b128 s[12:15], s[0:1], 0x138
	v_xor3_b32 v0, v32, v3, v7
	s_cmp_gt_u32 s2, 1
                                        ; implicit-def: $vgpr52 : SGPR spill to VGPR lane
	v_add_co_u32 v34, null, 0xf1bbcdc8, v10
	v_xor3_b32 v7, v35, v9, v5
	s_delay_alu instid0(VALU_DEP_3) | instskip(SKIP_2) | instid1(VALU_DEP_2)
	v_mad_u64_u32 v[3:4], null, 0xd2511f53, v0, 0
	s_cselect_b32 s11, -1, 0
	s_cmp_lg_u32 s4, 0
	v_mad_u64_u32 v[5:6], null, 0xcd9e8d57, v7, 0
	s_cselect_b32 s25, -1, 0
	s_add_u32 s36, s0, 0xf4
	s_delay_alu instid0(VALU_DEP_2) | instskip(SKIP_3) | instid1(VALU_DEP_2)
	v_xor3_b32 v0, v36, v4, v8
	s_addc_u32 s37, s1, 0
	s_min_u32 s0, s2, 15
	s_cmp_gt_u32 s4, 1
	v_xor3_b32 v2, v29, v6, v2
	v_mad_u64_u32 v[6:7], null, 0xcd9e8d57, v0, 0
	s_cselect_b32 s4, -1, 0
	s_add_i32 s0, s0, 1
	s_delay_alu instid0(VALU_DEP_2) | instskip(SKIP_2) | instid1(VALU_DEP_3)
	v_mad_u64_u32 v[8:9], null, 0xd2511f53, v2, 0
	s_and_b32 s1, s0, 3
	v_add_co_u32 v39, null, 0xdb3d7428, v16
	v_xor3_b32 v0, v33, v7, v5
	v_writelane_b32 v52, s1, 0
	v_add_nc_u32_e32 v24, 0x8ff34781, v10
	v_xor3_b32 v7, v37, v9, v3
	s_cmp_lg_u32 s2, 2
	v_mad_u64_u32 v[2:3], null, 0xd2511f53, v0, 0
	v_writelane_b32 v52, s40, 1
	s_delay_alu instid0(VALU_DEP_3) | instskip(SKIP_3) | instid1(VALU_DEP_4)
	v_mad_u64_u32 v[4:5], null, 0xcd9e8d57, v7, 0
	s_cselect_b32 s31, -1, 0
	s_and_b32 s22, s0, 28
	v_writelane_b32 v52, s41, 2
	v_xor3_b32 v0, v38, v3, v8
	v_mov_b32_e32 v40, v12
	s_cmp_lg_u32 s1, 0
	s_delay_alu instid0(VALU_DEP_4)
	v_xor3_b32 v3, v28, v5, v6
	s_waitcnt lgkmcnt(0)
	v_writelane_b32 v52, s42, 3
	v_mad_u64_u32 v[5:6], null, 0xcd9e8d57, v0, 0
	s_mov_b32 s26, 0x55555555
	v_mad_u64_u32 v[14:15], null, 0xd2511f53, v3, 0
	v_writelane_b32 v52, s43, 4
	s_mov_b32 s48, 0x6b47b09a
	s_mov_b32 s50, 0xbf559e2b
	s_delay_alu instid0(VALU_DEP_3) | instskip(SKIP_2) | instid1(VALU_DEP_3)
	v_xor3_b32 v0, v34, v6, v4
	s_mov_b32 s52, 0xd7f4df2e
	s_mov_b32 s54, 0x16291751
	v_xor3_b32 v4, v39, v15, v2
	s_mov_b32 s28, 0x9b27acf1
	v_mad_u64_u32 v[2:3], null, 0xd2511f53, v0, 0
	s_mov_b32 s102, 0x998ef7b6
	s_delay_alu instid0(VALU_DEP_2) | instskip(SKIP_3) | instid1(VALU_DEP_2)
	v_mad_u64_u32 v[6:7], null, 0xcd9e8d57, v4, 0
	s_mov_b32 s44, 0xfefa39ef
	s_mov_b32 s46, 0x3b39803f
	;; [unrolled: 1-line block ×3, first 2 shown]
	v_mov_b32_e32 v8, v2
	s_mov_b32 s38, 0xcdfe9424
	s_mov_b32 s56, 0x67754fff
	s_delay_alu instid0(VALU_DEP_2)
	v_xor3_b32 v5, v7, v5, v24
	v_xor3_b32 v7, v3, v14, v25
	s_mov_b32 s58, 0xe625be09
	s_mov_b32 s60, 0x54442d18
	;; [unrolled: 1-line block ×26, first 2 shown]
	s_cselect_b32 s23, -1, 0
	s_mov_b32 s29, 0x3fd24924
	s_mov_b32 s103, 0x3fd99999
	s_mov_b32 s45, 0x3fe62e42
	s_mov_b32 s47, 0x3c7abc9e
	s_mov_b32 s35, 0x3fb50782
	s_mov_b32 s39, 0xbfe32d2c
	s_mov_b32 s57, 0x400466bc
	s_mov_b32 s59, 0xc014abbc
	s_mov_b32 s61, 0x400921fb
	s_mov_b32 s63, 0x3f5f9c89
	s_mov_b32 s65, 0xbf1b1673
	s_mov_b32 s67, 0xbf9a6d1e
	s_mov_b32 s69, 0x3fce1f50
	s_mov_b32 s71, 0xbff55d3c
	s_mov_b32 s73, 0x40103c1f
	s_mov_b32 s75, 0xc013bd3c
	s_mov_b32 s77, 0x3ff71547
	s_mov_b32 s79, 0x3e928af3
	s_mov_b32 s81, 0x3e5ade15
	s_mov_b32 s83, 0x3ec71dee
	s_mov_b32 s85, 0x3efa0199
	s_mov_b32 s87, 0x3f2a01a0
	s_mov_b32 s89, 0x3f56c16c
	s_mov_b32 s91, 0x3f811111
	s_mov_b32 s93, 0x3fa55555
	s_mov_b32 s95, 0x3fc55555
	s_mov_b32 s97, 0x3fe00000
	s_mov_b32 s98, 0x55555780
	s_mov_b32 s3, 0xbfe62e42
	s_mov_b32 s101, 0xbc7abc9e
	v_writelane_b32 v52, s31, 5
	s_branch .LBB1_9
.LBB1_7:                                ;   in Loop: Header=BB1_9 Depth=1
	v_xor_b32_e32 v8, 0x80000000, v8
	v_and_b32_e32 v9, 0x80000000, v9
	v_cndmask_b32_e64 v7, v7, v15, s1
	s_mov_b32 s2, s44
	s_mov_b32 s100, s46
	v_cndmask_b32_e64 v8, v8, v16, s1
	s_delay_alu instid0(VALU_DEP_2) | instskip(NEXT) | instid1(VALU_DEP_2)
	v_cndmask_b32_e64 v7, 0, v7, s0
	v_xor_b32_e32 v8, v8, v9
	s_delay_alu instid0(VALU_DEP_1) | instskip(NEXT) | instid1(VALU_DEP_1)
	v_cndmask_b32_e64 v8, 0x7ff80000, v8, s0
	v_mul_f64 v[5:6], v[5:6], v[7:8]
	s_delay_alu instid0(VALU_DEP_1) | instskip(NEXT) | instid1(VALU_DEP_1)
	v_fma_f64 v[5:6], v[5:6], s[40:41], s[14:15]
	v_mul_f64 v[7:8], v[5:6], s[76:77]
	v_cmp_nlt_f64_e32 vcc_lo, 0x40900000, v[5:6]
	v_cmp_ngt_f64_e64 s0, 0xc090cc00, v[5:6]
	s_delay_alu instid0(VALU_DEP_3) | instskip(NEXT) | instid1(VALU_DEP_1)
	v_rndne_f64_e32 v[7:8], v[7:8]
	v_fma_f64 v[15:16], v[7:8], s[2:3], v[5:6]
	v_cvt_i32_f64_e32 v9, v[7:8]
	s_delay_alu instid0(VALU_DEP_2) | instskip(NEXT) | instid1(VALU_DEP_1)
	v_fma_f64 v[15:16], v[7:8], s[100:101], v[15:16]
	v_fma_f64 v[17:18], v[15:16], s[80:81], s[78:79]
	s_delay_alu instid0(VALU_DEP_1) | instskip(NEXT) | instid1(VALU_DEP_1)
	v_fma_f64 v[17:18], v[15:16], v[17:18], s[82:83]
	v_fma_f64 v[17:18], v[15:16], v[17:18], s[84:85]
	s_delay_alu instid0(VALU_DEP_1) | instskip(NEXT) | instid1(VALU_DEP_1)
	;; [unrolled: 3-line block ×5, first 2 shown]
	v_fma_f64 v[17:18], v[15:16], v[17:18], 1.0
	v_fma_f64 v[7:8], v[15:16], v[17:18], 1.0
	s_delay_alu instid0(VALU_DEP_1) | instskip(NEXT) | instid1(VALU_DEP_1)
	v_ldexp_f64 v[7:8], v[7:8], v9
	v_cndmask_b32_e32 v5, 0x7ff00000, v8, vcc_lo
	s_and_b32 vcc_lo, s0, vcc_lo
	s_delay_alu instid0(VALU_DEP_1) | instskip(NEXT) | instid1(VALU_DEP_3)
	v_cndmask_b32_e64 v6, 0, v5, s0
	v_cndmask_b32_e32 v5, 0, v7, vcc_lo
	global_store_b64 v0, v[5:6], s[12:13]
.LBB1_8:                                ;   in Loop: Header=BB1_9 Depth=1
	s_or_b32 exec_lo, exec_lo, s99
	v_add_co_u32 v12, vcc_lo, v12, s104
	v_add_co_ci_u32_e32 v13, vcc_lo, 0, v13, vcc_lo
	v_mov_b32_e32 v5, v14
	s_waitcnt_vscnt null, 0x0
	s_barrier
	s_delay_alu instid0(VALU_DEP_2)
	v_cmp_le_i64_e32 vcc_lo, s[18:19], v[12:13]
	buffer_gl0_inv
	v_mov_b32_e32 v8, v5
	v_dual_mov_b32 v7, v4 :: v_dual_mov_b32 v6, v3
	v_mov_b32_e32 v5, v2
	s_or_b32 s24, vcc_lo, s24
	s_delay_alu instid0(SALU_CYCLE_1)
	s_and_not1_b32 exec_lo, exec_lo, s24
	s_cbranch_execz .LBB1_50
.LBB1_9:                                ; =>This Loop Header: Depth=1
                                        ;     Child Loop BB1_24 Depth 2
                                        ;     Child Loop BB1_29 Depth 2
                                        ;     Child Loop BB1_40 Depth 2
                                        ;     Child Loop BB1_46 Depth 2
	v_add_co_u32 v19, vcc_lo, v19, 1
	s_delay_alu instid0(VALU_DEP_1) | instskip(SKIP_1) | instid1(VALU_DEP_3)
	v_cndmask_b32_e64 v0, 0, 1, vcc_lo
	v_add_co_ci_u32_e32 v20, vcc_lo, 0, v20, vcc_lo
	v_mad_u64_u32 v[2:3], null, 0xd2511f53, v19, 0
	s_mov_b32 s0, exec_lo
	s_delay_alu instid0(VALU_DEP_2) | instskip(SKIP_1) | instid1(VALU_DEP_1)
	v_cmp_eq_u32_e32 vcc_lo, 0, v20
	v_cndmask_b32_e32 v0, 0, v0, vcc_lo
	v_add_nc_u32_e32 v40, v0, v40
	s_delay_alu instid0(VALU_DEP_1) | instskip(SKIP_2) | instid1(VALU_DEP_2)
	v_cmp_eq_u32_e32 vcc_lo, 0, v40
	v_mad_u64_u32 v[14:15], null, 0xcd9e8d57, v40, 0
	v_cndmask_b32_e32 v0, 0, v0, vcc_lo
	v_xor3_b32 v9, v15, v10, v20
	s_delay_alu instid0(VALU_DEP_2) | instskip(SKIP_1) | instid1(VALU_DEP_3)
	v_add_nc_u32_e32 v41, v0, v41
	v_xor_b32_e32 v0, v3, v11
	v_mad_u64_u32 v[3:4], null, 0xd2511f53, v9, 0
	s_delay_alu instid0(VALU_DEP_2) | instskip(NEXT) | instid1(VALU_DEP_1)
	v_xor_b32_e32 v0, v41, v0
	v_mad_u64_u32 v[15:16], null, 0xcd9e8d57, v0, 0
	s_delay_alu instid0(VALU_DEP_3) | instskip(NEXT) | instid1(VALU_DEP_2)
	v_xor3_b32 v0, v21, v4, v2
	v_xor3_b32 v2, v23, v16, v14
	s_delay_alu instid0(VALU_DEP_2) | instskip(NEXT) | instid1(VALU_DEP_2)
	v_mad_u64_u32 v[16:17], null, 0xcd9e8d57, v0, 0
	v_mad_u64_u32 v[42:43], null, 0xd2511f53, v2, 0
	s_delay_alu instid0(VALU_DEP_2) | instskip(NEXT) | instid1(VALU_DEP_2)
	v_xor3_b32 v0, v26, v17, v15
	v_xor3_b32 v4, v27, v43, v3
	s_delay_alu instid0(VALU_DEP_2) | instskip(NEXT) | instid1(VALU_DEP_2)
	v_mad_u64_u32 v[2:3], null, 0xd2511f53, v0, 0
	v_mad_u64_u32 v[14:15], null, 0xcd9e8d57, v4, 0
	s_delay_alu instid0(VALU_DEP_2) | instskip(NEXT) | instid1(VALU_DEP_2)
	;; [unrolled: 6-line block ×8, first 2 shown]
	v_xor3_b32 v9, v15, v42, v25
	v_xor3_b32 v2, v4, v16, v24
	s_delay_alu instid0(VALU_DEP_2)
	v_mov_b32_e32 v4, v9
	v_cmpx_lt_i32_e32 1, v22
	s_xor_b32 s0, exec_lo, s0
	s_cbranch_execz .LBB1_15
; %bb.10:                               ;   in Loop: Header=BB1_9 Depth=1
	s_mov_b32 s1, exec_lo
	v_cmpx_lt_i32_e32 2, v22
	s_xor_b32 s1, exec_lo, s1
; %bb.11:                               ;   in Loop: Header=BB1_9 Depth=1
	v_dual_mov_b32 v6, v8 :: v_dual_mov_b32 v7, v2
	v_mov_b32_e32 v8, v3
	s_delay_alu instid0(VALU_DEP_2) | instskip(NEXT) | instid1(VALU_DEP_3)
	v_mov_b32_e32 v5, v6
	v_mov_b32_e32 v6, v7
	s_delay_alu instid0(VALU_DEP_3)
	v_mov_b32_e32 v7, v8
	v_mov_b32_e32 v8, v9
; %bb.12:                               ;   in Loop: Header=BB1_9 Depth=1
	s_and_not1_saveexec_b32 s1, s1
; %bb.13:                               ;   in Loop: Header=BB1_9 Depth=1
	s_delay_alu instid0(VALU_DEP_1)
	v_dual_mov_b32 v5, v7 :: v_dual_mov_b32 v6, v8
	v_dual_mov_b32 v7, v2 :: v_dual_mov_b32 v8, v3
; %bb.14:                               ;   in Loop: Header=BB1_9 Depth=1
	s_or_b32 exec_lo, exec_lo, s1
.LBB1_15:                               ;   in Loop: Header=BB1_9 Depth=1
	s_and_not1_saveexec_b32 s0, s0
	s_cbranch_execz .LBB1_19
; %bb.16:                               ;   in Loop: Header=BB1_9 Depth=1
	s_mov_b32 s1, exec_lo
	v_cmpx_eq_u32_e32 1, v22
; %bb.17:                               ;   in Loop: Header=BB1_9 Depth=1
	v_dual_mov_b32 v5, v6 :: v_dual_mov_b32 v6, v7
	v_dual_mov_b32 v7, v8 :: v_dual_mov_b32 v8, v2
; %bb.18:                               ;   in Loop: Header=BB1_9 Depth=1
	s_or_b32 exec_lo, exec_lo, s1
.LBB1_19:                               ;   in Loop: Header=BB1_9 Depth=1
	s_delay_alu instid0(SALU_CYCLE_1) | instskip(NEXT) | instid1(VALU_DEP_2)
	s_or_b32 exec_lo, exec_lo, s0
	v_mov_b32_e32 v0, v6
	s_mov_b32 s99, s27
	s_delay_alu instid0(VALU_DEP_1) | instskip(NEXT) | instid1(VALU_DEP_1)
	v_lshlrev_b64 v[15:16], 21, v[0:1]
	v_cvt_f64_u32_e32 v[16:17], v16
	s_delay_alu instid0(VALU_DEP_2) | instskip(NEXT) | instid1(VALU_DEP_1)
	v_xor_b32_e32 v0, v15, v5
	v_cvt_f64_u32_e32 v[5:6], v0
	s_delay_alu instid0(VALU_DEP_3) | instskip(SKIP_1) | instid1(VALU_DEP_2)
	v_ldexp_f64 v[15:16], v[16:17], 32
	v_mov_b32_e32 v17, v1
	v_add_f64 v[5:6], v[15:16], v[5:6]
	s_delay_alu instid0(VALU_DEP_1) | instskip(NEXT) | instid1(VALU_DEP_1)
	v_fma_f64 v[5:6], 0x3ca00000, v[5:6], 0x3ca00000
	v_frexp_mant_f64_e32 v[15:16], v[5:6]
	v_frexp_exp_i32_f64_e32 v0, v[5:6]
	s_delay_alu instid0(VALU_DEP_2) | instskip(SKIP_1) | instid1(VALU_DEP_3)
	v_cmp_gt_f64_e32 vcc_lo, s[26:27], v[15:16]
	v_cndmask_b32_e64 v18, 0x3ff00000, 2.0, vcc_lo
	v_subrev_co_ci_u32_e32 v0, vcc_lo, 0, v0, vcc_lo
	v_cmp_eq_f64_e32 vcc_lo, 0x7ff00000, v[5:6]
	s_delay_alu instid0(VALU_DEP_3) | instskip(NEXT) | instid1(VALU_DEP_1)
	v_mul_f64 v[15:16], v[15:16], v[17:18]
	v_add_f64 v[17:18], v[15:16], 1.0
	s_delay_alu instid0(VALU_DEP_1) | instskip(SKIP_2) | instid1(VALU_DEP_1)
	v_rcp_f64_e32 v[42:43], v[17:18]
	s_waitcnt_depctr 0xfff
	v_fma_f64 v[44:45], -v[17:18], v[42:43], 1.0
	v_fma_f64 v[42:43], v[44:45], v[42:43], v[42:43]
	s_delay_alu instid0(VALU_DEP_1) | instskip(NEXT) | instid1(VALU_DEP_1)
	v_fma_f64 v[44:45], -v[17:18], v[42:43], 1.0
	v_fma_f64 v[42:43], v[44:45], v[42:43], v[42:43]
	v_add_f64 v[44:45], v[17:18], -1.0
	s_delay_alu instid0(VALU_DEP_1) | instskip(SKIP_1) | instid1(VALU_DEP_1)
	v_add_f64 v[44:45], v[15:16], -v[44:45]
	v_add_f64 v[15:16], v[15:16], -1.0
	v_mul_f64 v[46:47], v[15:16], v[42:43]
	s_delay_alu instid0(VALU_DEP_1) | instskip(NEXT) | instid1(VALU_DEP_1)
	v_mul_f64 v[48:49], v[17:18], v[46:47]
	v_fma_f64 v[17:18], v[46:47], v[17:18], -v[48:49]
	s_delay_alu instid0(VALU_DEP_1) | instskip(NEXT) | instid1(VALU_DEP_1)
	v_fma_f64 v[17:18], v[46:47], v[44:45], v[17:18]
	v_add_f64 v[44:45], v[48:49], v[17:18]
	s_delay_alu instid0(VALU_DEP_1) | instskip(NEXT) | instid1(VALU_DEP_1)
	v_add_f64 v[48:49], v[44:45], -v[48:49]
	v_add_f64 v[17:18], v[48:49], -v[17:18]
	;; [unrolled: 1-line block ×3, first 2 shown]
	s_delay_alu instid0(VALU_DEP_1) | instskip(NEXT) | instid1(VALU_DEP_1)
	v_add_f64 v[15:16], v[15:16], -v[48:49]
	v_add_f64 v[15:16], v[15:16], -v[44:45]
	s_delay_alu instid0(VALU_DEP_1) | instskip(SKIP_1) | instid1(VALU_DEP_2)
	v_add_f64 v[15:16], v[17:18], v[15:16]
	v_cvt_f64_i32_e32 v[17:18], v0
	v_add_f64 v[15:16], v[48:49], v[15:16]
	s_delay_alu instid0(VALU_DEP_1) | instskip(NEXT) | instid1(VALU_DEP_3)
	v_mul_f64 v[15:16], v[42:43], v[15:16]
	v_mul_f64 v[42:43], v[17:18], s[44:45]
	s_delay_alu instid0(VALU_DEP_1) | instskip(NEXT) | instid1(VALU_DEP_1)
	v_fma_f64 v[44:45], v[17:18], s[44:45], -v[42:43]
	v_fma_f64 v[17:18], v[17:18], s[46:47], v[44:45]
	s_delay_alu instid0(VALU_DEP_4) | instskip(NEXT) | instid1(VALU_DEP_1)
	v_add_f64 v[44:45], v[46:47], v[15:16]
	v_add_f64 v[46:47], v[44:45], -v[46:47]
	s_delay_alu instid0(VALU_DEP_1) | instskip(SKIP_1) | instid1(VALU_DEP_2)
	v_add_f64 v[15:16], v[15:16], -v[46:47]
	v_mul_f64 v[46:47], v[44:45], v[44:45]
	v_ldexp_f64 v[15:16], v[15:16], 1
	s_delay_alu instid0(VALU_DEP_2) | instskip(NEXT) | instid1(VALU_DEP_1)
	v_fma_f64 v[48:49], v[46:47], s[50:51], s[48:49]
	v_fma_f64 v[48:49], v[46:47], v[48:49], s[52:53]
	s_delay_alu instid0(VALU_DEP_1) | instskip(NEXT) | instid1(VALU_DEP_1)
	v_fma_f64 v[48:49], v[46:47], v[48:49], s[54:55]
	v_fma_f64 v[48:49], v[46:47], v[48:49], s[28:29]
	s_delay_alu instid0(VALU_DEP_1) | instskip(NEXT) | instid1(VALU_DEP_1)
	v_fma_f64 v[48:49], v[46:47], v[48:49], s[102:103]
	v_fma_f64 v[48:49], v[46:47], v[48:49], s[98:99]
	v_mul_f64 v[46:47], v[44:45], v[46:47]
	v_ldexp_f64 v[44:45], v[44:45], 1
	s_mov_b32 s99, exec_lo
	s_delay_alu instid0(VALU_DEP_2) | instskip(NEXT) | instid1(VALU_DEP_1)
	v_mul_f64 v[46:47], v[46:47], v[48:49]
	v_add_f64 v[48:49], v[44:45], v[46:47]
	s_delay_alu instid0(VALU_DEP_1) | instskip(NEXT) | instid1(VALU_DEP_1)
	v_add_f64 v[44:45], v[48:49], -v[44:45]
	v_add_f64 v[44:45], v[46:47], -v[44:45]
	s_delay_alu instid0(VALU_DEP_1) | instskip(SKIP_1) | instid1(VALU_DEP_1)
	v_add_f64 v[15:16], v[15:16], v[44:45]
	v_add_f64 v[44:45], v[42:43], v[17:18]
	v_add_f64 v[42:43], v[44:45], -v[42:43]
	s_delay_alu instid0(VALU_DEP_1) | instskip(NEXT) | instid1(VALU_DEP_4)
	v_add_f64 v[17:18], v[17:18], -v[42:43]
	v_add_f64 v[42:43], v[48:49], v[15:16]
	s_delay_alu instid0(VALU_DEP_1) | instskip(SKIP_1) | instid1(VALU_DEP_2)
	v_add_f64 v[46:47], v[42:43], -v[48:49]
	v_add_f64 v[48:49], v[44:45], v[42:43]
	v_add_f64 v[15:16], v[15:16], -v[46:47]
	s_delay_alu instid0(VALU_DEP_2) | instskip(NEXT) | instid1(VALU_DEP_1)
	v_add_f64 v[50:51], v[48:49], -v[44:45]
	v_add_f64 v[42:43], v[42:43], -v[50:51]
	;; [unrolled: 1-line block ×3, first 2 shown]
	s_delay_alu instid0(VALU_DEP_1) | instskip(NEXT) | instid1(VALU_DEP_1)
	v_add_f64 v[44:45], v[44:45], -v[50:51]
	v_add_f64 v[42:43], v[42:43], v[44:45]
	v_add_f64 v[44:45], v[17:18], v[15:16]
	s_delay_alu instid0(VALU_DEP_1) | instskip(NEXT) | instid1(VALU_DEP_3)
	v_add_f64 v[46:47], v[44:45], -v[17:18]
	v_add_f64 v[42:43], v[44:45], v[42:43]
	s_delay_alu instid0(VALU_DEP_2) | instskip(SKIP_1) | instid1(VALU_DEP_1)
	v_add_f64 v[15:16], v[15:16], -v[46:47]
	v_add_f64 v[46:47], v[44:45], -v[46:47]
	;; [unrolled: 1-line block ×3, first 2 shown]
	s_delay_alu instid0(VALU_DEP_1) | instskip(SKIP_1) | instid1(VALU_DEP_1)
	v_add_f64 v[15:16], v[15:16], v[17:18]
	v_add_f64 v[17:18], v[48:49], v[42:43]
	v_add_f64 v[44:45], v[17:18], -v[48:49]
	s_delay_alu instid0(VALU_DEP_1) | instskip(NEXT) | instid1(VALU_DEP_1)
	v_add_f64 v[42:43], v[42:43], -v[44:45]
	v_add_f64 v[15:16], v[15:16], v[42:43]
	s_delay_alu instid0(VALU_DEP_1) | instskip(NEXT) | instid1(VALU_DEP_1)
	v_add_f64 v[15:16], v[17:18], v[15:16]
	v_dual_cndmask_b32 v16, v16, v6 :: v_dual_cndmask_b32 v15, v15, v5
	v_cmp_neq_f64_e32 vcc_lo, 0, v[5:6]
	s_delay_alu instid0(VALU_DEP_2) | instskip(NEXT) | instid1(VALU_DEP_1)
	v_mul_f64 v[5:6], v[15:16], -2.0
	v_cndmask_b32_e32 v6, 0x7ff00000, v6, vcc_lo
	s_delay_alu instid0(VALU_DEP_2) | instskip(NEXT) | instid1(VALU_DEP_1)
	v_cndmask_b32_e32 v5, 0, v5, vcc_lo
	v_cmp_gt_f64_e32 vcc_lo, 0x10000000, v[5:6]
	v_cndmask_b32_e64 v0, 0, 1, vcc_lo
	s_delay_alu instid0(VALU_DEP_1) | instskip(NEXT) | instid1(VALU_DEP_1)
	v_lshlrev_b32_e32 v0, 8, v0
	v_ldexp_f64 v[5:6], v[5:6], v0
	v_mov_b32_e32 v0, v8
	s_delay_alu instid0(VALU_DEP_1) | instskip(NEXT) | instid1(VALU_DEP_1)
	v_lshlrev_b64 v[8:9], 21, v[0:1]
	v_xor_b32_e32 v0, v8, v7
	s_delay_alu instid0(VALU_DEP_2) | instskip(SKIP_1) | instid1(VALU_DEP_1)
	v_cvt_f64_u32_e32 v[7:8], v9
	v_rsq_f64_e32 v[15:16], v[5:6]
	v_ldexp_f64 v[7:8], v[7:8], 32
	s_waitcnt_depctr 0xfff
	v_mul_f64 v[17:18], v[5:6], v[15:16]
	v_mul_f64 v[15:16], v[15:16], 0.5
	s_delay_alu instid0(VALU_DEP_1) | instskip(NEXT) | instid1(VALU_DEP_1)
	v_fma_f64 v[42:43], -v[15:16], v[17:18], 0.5
	v_fma_f64 v[17:18], v[17:18], v[42:43], v[17:18]
	v_fma_f64 v[15:16], v[15:16], v[42:43], v[15:16]
	s_delay_alu instid0(VALU_DEP_2) | instskip(NEXT) | instid1(VALU_DEP_1)
	v_fma_f64 v[42:43], -v[17:18], v[17:18], v[5:6]
	v_fma_f64 v[17:18], v[42:43], v[15:16], v[17:18]
	s_delay_alu instid0(VALU_DEP_1) | instskip(NEXT) | instid1(VALU_DEP_1)
	v_fma_f64 v[42:43], -v[17:18], v[17:18], v[5:6]
	v_fma_f64 v[15:16], v[42:43], v[15:16], v[17:18]
	v_cvt_f64_u32_e32 v[17:18], v0
	v_cndmask_b32_e64 v0, 0, 0xffffff80, vcc_lo
	v_cmp_class_f64_e64 vcc_lo, v[5:6], 0x260
	s_delay_alu instid0(VALU_DEP_2) | instskip(NEXT) | instid1(VALU_DEP_4)
	v_ldexp_f64 v[15:16], v[15:16], v0
	v_add_f64 v[7:8], v[7:8], v[17:18]
	s_delay_alu instid0(VALU_DEP_2) | instskip(NEXT) | instid1(VALU_DEP_2)
	v_cndmask_b32_e32 v5, v15, v5, vcc_lo
	v_fma_f64 v[17:18], 0x3cb00000, v[7:8], 0x3cb00000
	s_delay_alu instid0(VALU_DEP_4) | instskip(NEXT) | instid1(VALU_DEP_2)
	v_cndmask_b32_e32 v6, v16, v6, vcc_lo
	v_mul_f64 v[7:8], v[17:18], 0.5
	v_cmp_lt_f64_e64 s0, 1.0, v[17:18]
	s_delay_alu instid0(VALU_DEP_2) | instskip(SKIP_1) | instid1(VALU_DEP_2)
	v_fract_f64_e32 v[15:16], v[7:8]
	v_cmp_neq_f64_e32 vcc_lo, 0x7ff00000, v[7:8]
	v_add_f64 v[7:8], v[15:16], v[15:16]
	s_delay_alu instid0(VALU_DEP_1) | instskip(SKIP_2) | instid1(VALU_DEP_1)
	v_dual_cndmask_b32 v7, 0, v7 :: v_dual_cndmask_b32 v0, 0, v8
	s_mov_b32 vcc_lo, 0xf99eb0bb
	s_mov_b32 vcc_hi, 0x3f3e357e
	v_cndmask_b32_e64 v7, v17, v7, s0
	s_delay_alu instid0(VALU_DEP_2) | instskip(SKIP_2) | instid1(VALU_DEP_1)
	v_cndmask_b32_e64 v8, v18, v0, s0
	s_mov_b32 s0, 0x6fdffd2b
	s_mov_b32 s1, 0xbf7e2fe7
	v_add_f64 v[15:16], v[7:8], v[7:8]
	s_delay_alu instid0(VALU_DEP_1) | instskip(NEXT) | instid1(VALU_DEP_1)
	v_rndne_f64_e32 v[42:43], v[15:16]
	v_fma_f64 v[7:8], v[42:43], -0.5, v[7:8]
	v_cvt_i32_f64_e32 v0, v[42:43]
	s_delay_alu instid0(VALU_DEP_2) | instskip(NEXT) | instid1(VALU_DEP_2)
	v_mul_f64 v[15:16], v[7:8], v[7:8]
	v_and_b32_e32 v9, 1, v0
	s_delay_alu instid0(VALU_DEP_2) | instskip(SKIP_2) | instid1(VALU_DEP_4)
	v_fma_f64 v[44:45], v[15:16], vcc, s[0:1]
	v_mul_f64 v[46:47], v[7:8], v[15:16]
	v_cmp_lg_f64_e64 s0, 0x7ff00000, v[17:18]
	v_cmp_eq_u32_e64 s1, 0, v9
	v_lshlrev_b32_e32 v9, 30, v0
	v_fma_f64 v[44:45], v[15:16], v[44:45], s[34:35]
	s_delay_alu instid0(VALU_DEP_1) | instskip(NEXT) | instid1(VALU_DEP_1)
	v_fma_f64 v[44:45], v[15:16], v[44:45], s[38:39]
	v_fma_f64 v[44:45], v[15:16], v[44:45], s[56:57]
	s_delay_alu instid0(VALU_DEP_1) | instskip(NEXT) | instid1(VALU_DEP_1)
	v_fma_f64 v[44:45], v[15:16], v[44:45], s[58:59]
	v_mul_f64 v[44:45], v[46:47], v[44:45]
	s_delay_alu instid0(VALU_DEP_1) | instskip(SKIP_1) | instid1(VALU_DEP_1)
	v_fma_f64 v[7:8], v[7:8], s[60:61], v[44:45]
	v_fma_f64 v[44:45], v[15:16], s[64:65], s[62:63]
	;; [unrolled: 1-line block ×3, first 2 shown]
	s_delay_alu instid0(VALU_DEP_1) | instskip(NEXT) | instid1(VALU_DEP_1)
	v_fma_f64 v[44:45], v[15:16], v[44:45], s[68:69]
	v_fma_f64 v[44:45], v[15:16], v[44:45], s[70:71]
	s_delay_alu instid0(VALU_DEP_1) | instskip(NEXT) | instid1(VALU_DEP_1)
	v_fma_f64 v[44:45], v[15:16], v[44:45], s[72:73]
	v_fma_f64 v[44:45], v[15:16], v[44:45], s[74:75]
	s_delay_alu instid0(VALU_DEP_1)
	v_fma_f64 v[15:16], v[15:16], v[44:45], 1.0
	v_cmpx_gt_i64_e64 s[16:17], v[12:13]
	s_cbranch_execz .LBB1_35
; %bb.20:                               ;   in Loop: Header=BB1_9 Depth=1
	s_and_not1_b32 vcc_lo, exec_lo, s11
	s_cbranch_vccnz .LBB1_26
; %bb.21:                               ;   in Loop: Header=BB1_9 Depth=1
	v_mov_b32_e32 v0, 0
	s_and_not1_b32 vcc_lo, exec_lo, s25
	s_cbranch_vccnz .LBB1_31
; %bb.22:                               ;   in Loop: Header=BB1_9 Depth=1
	s_and_not1_b32 vcc_lo, exec_lo, s31
	s_mov_b32 s2, 0
	s_cbranch_vccnz .LBB1_27
; %bb.23:                               ;   in Loop: Header=BB1_9 Depth=1
	v_dual_mov_b32 v0, 0 :: v_dual_mov_b32 v17, v12
	s_mov_b64 s[102:103], s[20:21]
	s_mov_b64 vcc, s[36:37]
.LBB1_24:                               ;   Parent Loop BB1_9 Depth=1
                                        ; =>  This Inner Loop Header: Depth=2
	s_clause 0x1
	s_load_b256 s[48:55], s[102:103], 0x4
	s_load_b128 s[40:43], s[102:103], 0x24
	s_load_b128 s[28:31], vcc, 0x0
	s_add_u32 s102, s102, 48
	s_addc_u32 s103, s103, 0
	s_add_i32 s2, s2, 4
	s_add_u32 vcc_lo, vcc_lo, 16
	s_addc_u32 vcc_hi, vcc_hi, 0
	s_cmp_lg_u32 s22, s2
	s_waitcnt lgkmcnt(0)
	v_mul_hi_u32 v42, s49, v17
	s_delay_alu instid0(VALU_DEP_1) | instskip(NEXT) | instid1(VALU_DEP_1)
	v_add_nc_u32_e32 v42, v17, v42
	v_lshrrev_b32_e32 v42, s50, v42
	s_delay_alu instid0(VALU_DEP_1) | instskip(SKIP_1) | instid1(VALU_DEP_2)
	v_mul_hi_u32 v43, s52, v42
	v_mul_lo_u32 v46, v42, s48
	v_add_nc_u32_e32 v43, v42, v43
	s_delay_alu instid0(VALU_DEP_2) | instskip(NEXT) | instid1(VALU_DEP_2)
	v_sub_nc_u32_e32 v46, v17, v46
	v_lshrrev_b32_e32 v43, s53, v43
	s_delay_alu instid0(VALU_DEP_2) | instskip(NEXT) | instid1(VALU_DEP_2)
	v_mul_lo_u32 v46, v46, s28
	v_mul_hi_u32 v44, s55, v43
	v_mul_lo_u32 v47, v43, s51
	s_delay_alu instid0(VALU_DEP_2) | instskip(NEXT) | instid1(VALU_DEP_2)
	v_add_nc_u32_e32 v44, v43, v44
	v_sub_nc_u32_e32 v42, v42, v47
	s_delay_alu instid0(VALU_DEP_2) | instskip(NEXT) | instid1(VALU_DEP_2)
	v_lshrrev_b32_e32 v44, s40, v44
	v_mul_lo_u32 v42, v42, s29
	s_delay_alu instid0(VALU_DEP_2) | instskip(NEXT) | instid1(VALU_DEP_2)
	v_mul_hi_u32 v45, s42, v44
	v_add3_u32 v0, v46, v0, v42
	s_delay_alu instid0(VALU_DEP_2) | instskip(NEXT) | instid1(VALU_DEP_1)
	v_add_nc_u32_e32 v45, v44, v45
	v_lshrrev_b32_e32 v17, s43, v45
	v_mul_lo_u32 v45, v44, s54
	s_delay_alu instid0(VALU_DEP_2) | instskip(NEXT) | instid1(VALU_DEP_2)
	v_mul_lo_u32 v48, v17, s41
	v_sub_nc_u32_e32 v43, v43, v45
	s_delay_alu instid0(VALU_DEP_2) | instskip(NEXT) | instid1(VALU_DEP_2)
	v_sub_nc_u32_e32 v44, v44, v48
	v_mul_lo_u32 v43, v43, s30
	s_delay_alu instid0(VALU_DEP_2) | instskip(NEXT) | instid1(VALU_DEP_1)
	v_mul_lo_u32 v44, v44, s31
	v_add3_u32 v0, v43, v0, v44
	s_cbranch_scc1 .LBB1_24
; %bb.25:                               ;   in Loop: Header=BB1_9 Depth=1
	v_readlane_b32 s40, v52, 1
	v_readlane_b32 s42, v52, 3
	;; [unrolled: 1-line block ×5, first 2 shown]
	s_mov_b32 s48, 0x6b47b09a
	s_mov_b32 s50, 0xbf559e2b
	;; [unrolled: 1-line block ×9, first 2 shown]
	s_and_not1_b32 vcc_lo, exec_lo, s23
	s_cbranch_vccz .LBB1_28
	s_branch .LBB1_30
.LBB1_26:                               ;   in Loop: Header=BB1_9 Depth=1
                                        ; implicit-def: $vgpr0
	s_branch .LBB1_32
.LBB1_27:                               ;   in Loop: Header=BB1_9 Depth=1
	v_mov_b32_e32 v17, v12
	s_and_not1_b32 vcc_lo, exec_lo, s23
	s_cbranch_vccnz .LBB1_30
.LBB1_28:                               ;   in Loop: Header=BB1_9 Depth=1
	s_lshl_b32 s28, s2, 2
	s_mul_i32 s2, s2, 12
	s_add_u32 s102, s36, s28
	s_addc_u32 s103, s37, 0
	s_add_u32 vcc_lo, s20, s2
	v_readlane_b32 s2, v52, 0
	s_addc_u32 vcc_hi, s21, 0
	.p2align	6
.LBB1_29:                               ;   Parent Loop BB1_9 Depth=1
                                        ; =>  This Inner Loop Header: Depth=2
	s_clause 0x1
	s_load_b64 s[28:29], vcc, 0x4
	s_load_b32 s30, vcc, 0xc
	s_add_u32 vcc_lo, vcc_lo, 12
	s_addc_u32 vcc_hi, vcc_hi, 0
	s_waitcnt lgkmcnt(0)
	v_mul_hi_u32 v42, s29, v17
	s_load_b32 s29, s[102:103], 0x0
	s_add_u32 s102, s102, 4
	s_addc_u32 s103, s103, 0
	s_add_i32 s2, s2, -1
	s_delay_alu instid0(SALU_CYCLE_1) | instskip(NEXT) | instid1(VALU_DEP_1)
	s_cmp_lg_u32 s2, 0
	v_add_nc_u32_e32 v42, v17, v42
	s_delay_alu instid0(VALU_DEP_1) | instskip(NEXT) | instid1(VALU_DEP_1)
	v_lshrrev_b32_e32 v44, s30, v42
	v_mul_lo_u32 v42, v44, s28
	s_delay_alu instid0(VALU_DEP_1) | instskip(SKIP_1) | instid1(VALU_DEP_1)
	v_sub_nc_u32_e32 v17, v17, v42
	s_waitcnt lgkmcnt(0)
	v_mad_u64_u32 v[42:43], null, v17, s29, v[0:1]
	s_delay_alu instid0(VALU_DEP_1)
	v_dual_mov_b32 v17, v44 :: v_dual_mov_b32 v0, v42
	s_cbranch_scc1 .LBB1_29
.LBB1_30:                               ;   in Loop: Header=BB1_9 Depth=1
	s_mov_b32 s28, 0x9b27acf1
	s_mov_b32 s102, 0x998ef7b6
	;; [unrolled: 1-line block ×4, first 2 shown]
.LBB1_31:                               ;   in Loop: Header=BB1_9 Depth=1
	s_cbranch_execnz .LBB1_34
.LBB1_32:                               ;   in Loop: Header=BB1_9 Depth=1
	v_mul_hi_u32 v0, v12, s6
	s_and_not1_b32 vcc_lo, exec_lo, s4
	s_delay_alu instid0(VALU_DEP_1) | instskip(NEXT) | instid1(VALU_DEP_1)
	v_add_nc_u32_e32 v0, v0, v12
	v_lshrrev_b32_e32 v17, s7, v0
	s_delay_alu instid0(VALU_DEP_1) | instskip(NEXT) | instid1(VALU_DEP_1)
	v_mul_lo_u32 v0, v17, s5
	v_sub_nc_u32_e32 v0, v12, v0
	s_delay_alu instid0(VALU_DEP_1)
	v_mul_lo_u32 v0, v0, s42
	s_cbranch_vccnz .LBB1_34
; %bb.33:                               ;   in Loop: Header=BB1_9 Depth=1
	v_mul_hi_u32 v42, s9, v17
	s_delay_alu instid0(VALU_DEP_1) | instskip(NEXT) | instid1(VALU_DEP_1)
	v_add_nc_u32_e32 v42, v17, v42
	v_lshrrev_b32_e32 v42, s10, v42
	s_delay_alu instid0(VALU_DEP_1) | instskip(NEXT) | instid1(VALU_DEP_1)
	v_mul_lo_u32 v42, v42, s8
	v_sub_nc_u32_e32 v17, v17, v42
	s_delay_alu instid0(VALU_DEP_1) | instskip(NEXT) | instid1(VALU_DEP_1)
	v_mad_u64_u32 v[42:43], null, v17, s43, v[0:1]
	v_mov_b32_e32 v0, v42
.LBB1_34:                               ;   in Loop: Header=BB1_9 Depth=1
	v_xor_b32_e32 v17, v9, v18
	s_delay_alu instid0(VALU_DEP_4) | instskip(SKIP_4) | instid1(VALU_DEP_1)
	v_cndmask_b32_e64 v18, v16, v8, s1
	v_cndmask_b32_e64 v42, v15, v7, s1
	s_mov_b32 s2, s44
	s_mov_b32 s100, s46
	v_and_b32_e32 v17, 0x80000000, v17
	v_xor_b32_e32 v18, v18, v17
	v_cndmask_b32_e64 v17, 0, v42, s0
	s_delay_alu instid0(VALU_DEP_2) | instskip(NEXT) | instid1(VALU_DEP_1)
	v_cndmask_b32_e64 v18, 0x7ff80000, v18, s0
	v_mul_f64 v[17:18], v[5:6], v[17:18]
	s_delay_alu instid0(VALU_DEP_1) | instskip(NEXT) | instid1(VALU_DEP_1)
	v_fma_f64 v[17:18], v[17:18], s[40:41], s[14:15]
	v_mul_f64 v[42:43], v[17:18], s[76:77]
	v_cmp_nlt_f64_e32 vcc_lo, 0x40900000, v[17:18]
	s_delay_alu instid0(VALU_DEP_2) | instskip(NEXT) | instid1(VALU_DEP_1)
	v_rndne_f64_e32 v[42:43], v[42:43]
	v_fma_f64 v[44:45], v[42:43], s[2:3], v[17:18]
	v_cmp_ngt_f64_e64 s2, 0xc090cc00, v[17:18]
	s_delay_alu instid0(VALU_DEP_2) | instskip(SKIP_1) | instid1(VALU_DEP_2)
	v_fma_f64 v[44:45], v[42:43], s[100:101], v[44:45]
	v_cvt_i32_f64_e32 v42, v[42:43]
	v_fma_f64 v[46:47], v[44:45], s[80:81], s[78:79]
	s_delay_alu instid0(VALU_DEP_1) | instskip(NEXT) | instid1(VALU_DEP_1)
	v_fma_f64 v[46:47], v[44:45], v[46:47], s[82:83]
	v_fma_f64 v[46:47], v[44:45], v[46:47], s[84:85]
	s_delay_alu instid0(VALU_DEP_1) | instskip(NEXT) | instid1(VALU_DEP_1)
	v_fma_f64 v[46:47], v[44:45], v[46:47], s[86:87]
	;; [unrolled: 3-line block ×4, first 2 shown]
	v_fma_f64 v[46:47], v[44:45], v[46:47], s[96:97]
	s_delay_alu instid0(VALU_DEP_1) | instskip(NEXT) | instid1(VALU_DEP_1)
	v_fma_f64 v[46:47], v[44:45], v[46:47], 1.0
	v_fma_f64 v[44:45], v[44:45], v[46:47], 1.0
	s_delay_alu instid0(VALU_DEP_1) | instskip(NEXT) | instid1(VALU_DEP_1)
	v_ldexp_f64 v[42:43], v[44:45], v42
	v_cndmask_b32_e32 v17, 0x7ff00000, v43, vcc_lo
	s_and_b32 vcc_lo, s2, vcc_lo
	s_delay_alu instid0(VALU_DEP_1) | instskip(NEXT) | instid1(VALU_DEP_3)
	v_cndmask_b32_e64 v18, 0, v17, s2
	v_cndmask_b32_e32 v17, 0, v42, vcc_lo
	global_store_b64 v0, v[17:18], s[12:13]
.LBB1_35:                               ;   in Loop: Header=BB1_9 Depth=1
	s_or_b32 exec_lo, exec_lo, s99
	v_add_co_u32 v17, vcc_lo, v12, s33
	v_add_co_ci_u32_e32 v18, vcc_lo, 0, v13, vcc_lo
	s_mov_b32 s99, exec_lo
	s_delay_alu instid0(VALU_DEP_1)
	v_cmpx_gt_i64_e64 s[16:17], v[17:18]
	s_cbranch_execz .LBB1_8
; %bb.36:                               ;   in Loop: Header=BB1_9 Depth=1
	s_and_not1_b32 vcc_lo, exec_lo, s11
	s_cbranch_vccnz .LBB1_43
; %bb.37:                               ;   in Loop: Header=BB1_9 Depth=1
	v_mov_b32_e32 v0, 0
	s_and_not1_b32 vcc_lo, exec_lo, s25
	s_cbranch_vccnz .LBB1_42
; %bb.38:                               ;   in Loop: Header=BB1_9 Depth=1
	s_and_not1_b32 vcc_lo, exec_lo, s31
	s_mov_b32 s2, 0
	s_cbranch_vccnz .LBB1_44
; %bb.39:                               ;   in Loop: Header=BB1_9 Depth=1
	v_mov_b32_e32 v0, 0
	v_mov_b32_e32 v18, v17
	s_mov_b64 s[102:103], s[20:21]
	s_mov_b64 vcc, s[36:37]
.LBB1_40:                               ;   Parent Loop BB1_9 Depth=1
                                        ; =>  This Inner Loop Header: Depth=2
	s_clause 0x1
	s_load_b256 s[48:55], s[102:103], 0x4
	s_load_b128 s[28:31], s[102:103], 0x24
	s_load_b128 s[40:43], vcc, 0x0
	s_add_u32 s102, s102, 48
	s_addc_u32 s103, s103, 0
	s_add_i32 s2, s2, 4
	s_add_u32 vcc_lo, vcc_lo, 16
	s_addc_u32 vcc_hi, vcc_hi, 0
	s_cmp_eq_u32 s22, s2
	s_waitcnt lgkmcnt(0)
	v_mul_hi_u32 v42, s49, v18
	s_delay_alu instid0(VALU_DEP_1) | instskip(NEXT) | instid1(VALU_DEP_1)
	v_add_nc_u32_e32 v42, v18, v42
	v_lshrrev_b32_e32 v42, s50, v42
	s_delay_alu instid0(VALU_DEP_1) | instskip(SKIP_1) | instid1(VALU_DEP_2)
	v_mul_hi_u32 v43, s52, v42
	v_mul_lo_u32 v46, v42, s48
	v_add_nc_u32_e32 v43, v42, v43
	s_delay_alu instid0(VALU_DEP_2) | instskip(NEXT) | instid1(VALU_DEP_2)
	v_sub_nc_u32_e32 v46, v18, v46
	v_lshrrev_b32_e32 v43, s53, v43
	s_delay_alu instid0(VALU_DEP_2) | instskip(NEXT) | instid1(VALU_DEP_2)
	v_mul_lo_u32 v46, v46, s40
	v_mul_hi_u32 v44, s55, v43
	v_mul_lo_u32 v47, v43, s51
	s_delay_alu instid0(VALU_DEP_2) | instskip(NEXT) | instid1(VALU_DEP_2)
	v_add_nc_u32_e32 v44, v43, v44
	v_sub_nc_u32_e32 v42, v42, v47
	s_delay_alu instid0(VALU_DEP_2) | instskip(NEXT) | instid1(VALU_DEP_2)
	v_lshrrev_b32_e32 v44, s28, v44
	v_mul_lo_u32 v42, v42, s41
	s_delay_alu instid0(VALU_DEP_2) | instskip(NEXT) | instid1(VALU_DEP_2)
	v_mul_hi_u32 v45, s30, v44
	v_add3_u32 v0, v46, v0, v42
	s_delay_alu instid0(VALU_DEP_2) | instskip(NEXT) | instid1(VALU_DEP_1)
	v_add_nc_u32_e32 v45, v44, v45
	v_lshrrev_b32_e32 v18, s31, v45
	v_mul_lo_u32 v45, v44, s54
	s_delay_alu instid0(VALU_DEP_2) | instskip(NEXT) | instid1(VALU_DEP_2)
	v_mul_lo_u32 v48, v18, s29
	v_sub_nc_u32_e32 v43, v43, v45
	s_delay_alu instid0(VALU_DEP_2) | instskip(NEXT) | instid1(VALU_DEP_2)
	v_sub_nc_u32_e32 v44, v44, v48
	v_mul_lo_u32 v43, v43, s42
	s_delay_alu instid0(VALU_DEP_2) | instskip(NEXT) | instid1(VALU_DEP_1)
	v_mul_lo_u32 v44, v44, s43
	v_add3_u32 v0, v43, v0, v44
	s_cbranch_scc0 .LBB1_40
; %bb.41:                               ;   in Loop: Header=BB1_9 Depth=1
	v_readlane_b32 s40, v52, 1
	v_readlane_b32 s42, v52, 3
	;; [unrolled: 1-line block ×5, first 2 shown]
	s_mov_b32 s48, 0x6b47b09a
	s_mov_b32 s50, 0xbf559e2b
	;; [unrolled: 1-line block ×13, first 2 shown]
	s_and_not1_b32 vcc_lo, exec_lo, s23
	s_cbranch_vccz .LBB1_45
.LBB1_42:                               ;   in Loop: Header=BB1_9 Depth=1
	s_cbranch_execnz .LBB1_7
	s_branch .LBB1_48
.LBB1_43:                               ;   in Loop: Header=BB1_9 Depth=1
                                        ; implicit-def: $vgpr0
	s_branch .LBB1_48
.LBB1_44:                               ;   in Loop: Header=BB1_9 Depth=1
	v_mov_b32_e32 v18, v17
	s_and_not1_b32 vcc_lo, exec_lo, s23
	s_cbranch_vccnz .LBB1_42
.LBB1_45:                               ;   in Loop: Header=BB1_9 Depth=1
	s_lshl_b32 s28, s2, 2
	s_mul_i32 s2, s2, 12
	s_add_u32 s102, s36, s28
	s_addc_u32 s103, s37, 0
	s_add_u32 vcc_lo, s20, s2
	v_readlane_b32 s2, v52, 0
	s_addc_u32 vcc_hi, s21, 0
	.p2align	6
.LBB1_46:                               ;   Parent Loop BB1_9 Depth=1
                                        ; =>  This Inner Loop Header: Depth=2
	s_clause 0x1
	s_load_b64 s[28:29], vcc, 0x4
	s_load_b32 s30, vcc, 0xc
	s_add_u32 vcc_lo, vcc_lo, 12
	s_addc_u32 vcc_hi, vcc_hi, 0
	s_waitcnt lgkmcnt(0)
	v_mul_hi_u32 v42, s29, v18
	s_load_b32 s29, s[102:103], 0x0
	s_add_u32 s102, s102, 4
	s_addc_u32 s103, s103, 0
	s_add_i32 s2, s2, -1
	s_delay_alu instid0(SALU_CYCLE_1) | instskip(NEXT) | instid1(VALU_DEP_1)
	s_cmp_lg_u32 s2, 0
	v_add_nc_u32_e32 v42, v18, v42
	s_delay_alu instid0(VALU_DEP_1) | instskip(NEXT) | instid1(VALU_DEP_1)
	v_lshrrev_b32_e32 v44, s30, v42
	v_mul_lo_u32 v42, v44, s28
	s_delay_alu instid0(VALU_DEP_1) | instskip(SKIP_1) | instid1(VALU_DEP_1)
	v_sub_nc_u32_e32 v18, v18, v42
	s_waitcnt lgkmcnt(0)
	v_mad_u64_u32 v[42:43], null, v18, s29, v[0:1]
	v_mov_b32_e32 v18, v44
	s_delay_alu instid0(VALU_DEP_2)
	v_mov_b32_e32 v0, v42
	s_cbranch_scc1 .LBB1_46
; %bb.47:                               ;   in Loop: Header=BB1_9 Depth=1
	s_mov_b32 s28, 0x9b27acf1
	s_mov_b32 s102, 0x998ef7b6
	;; [unrolled: 1-line block ×4, first 2 shown]
	s_cbranch_execnz .LBB1_7
.LBB1_48:                               ;   in Loop: Header=BB1_9 Depth=1
	v_mul_hi_u32 v0, v17, s6
	s_and_not1_b32 vcc_lo, exec_lo, s4
	s_delay_alu instid0(VALU_DEP_1) | instskip(NEXT) | instid1(VALU_DEP_1)
	v_add_nc_u32_e32 v0, v0, v17
	v_lshrrev_b32_e32 v18, s7, v0
	s_delay_alu instid0(VALU_DEP_1) | instskip(NEXT) | instid1(VALU_DEP_1)
	v_mul_lo_u32 v0, v18, s5
	v_sub_nc_u32_e32 v0, v17, v0
	s_delay_alu instid0(VALU_DEP_1)
	v_mul_lo_u32 v0, v0, s42
	s_cbranch_vccnz .LBB1_7
; %bb.49:                               ;   in Loop: Header=BB1_9 Depth=1
	v_mul_hi_u32 v17, s9, v18
	s_delay_alu instid0(VALU_DEP_1) | instskip(NEXT) | instid1(VALU_DEP_1)
	v_add_nc_u32_e32 v17, v18, v17
	v_lshrrev_b32_e32 v17, s10, v17
	s_delay_alu instid0(VALU_DEP_1) | instskip(NEXT) | instid1(VALU_DEP_1)
	v_mul_lo_u32 v17, v17, s8
	v_sub_nc_u32_e32 v42, v18, v17
	s_delay_alu instid0(VALU_DEP_1) | instskip(NEXT) | instid1(VALU_DEP_1)
	v_mad_u64_u32 v[17:18], null, v42, s43, v[0:1]
	v_mov_b32_e32 v0, v17
	s_branch .LBB1_7
.LBB1_50:
	s_endpgm
.LBB1_51:
                                        ; implicit-def: $sgpr2_sgpr3
	s_branch .LBB1_4
	.section	.rodata,"a",@progbits
	.p2align	6, 0x0
	.amdhsa_kernel _ZN2at6native12_GLOBAL__N_143distribution_elementwise_grid_stride_kernelIdLi2EZNS0_9templates4cuda20normal_and_transformIddPNS_17CUDAGeneratorImplEZZZNS4_17log_normal_kernelIS7_EEvRNS_18TensorIteratorBaseEddT_ENKUlvE_clEvENKUlvE_clEvEUldE_EEvSA_T1_T2_EUlP25hiprandStatePhilox4_32_10E_ZNS1_27distribution_nullary_kernelIdd15HIP_vector_typeIdLj2EES7_SJ_SE_EEvSA_SG_RKT3_T4_EUlidE0_EEvlNS_15PhiloxCudaStateESF_SG_
		.amdhsa_group_segment_fixed_size 0
		.amdhsa_private_segment_fixed_size 0
		.amdhsa_kernarg_size 592
		.amdhsa_user_sgpr_count 15
		.amdhsa_user_sgpr_dispatch_ptr 0
		.amdhsa_user_sgpr_queue_ptr 0
		.amdhsa_user_sgpr_kernarg_segment_ptr 1
		.amdhsa_user_sgpr_dispatch_id 0
		.amdhsa_user_sgpr_private_segment_size 0
		.amdhsa_wavefront_size32 1
		.amdhsa_uses_dynamic_stack 0
		.amdhsa_enable_private_segment 0
		.amdhsa_system_sgpr_workgroup_id_x 1
		.amdhsa_system_sgpr_workgroup_id_y 0
		.amdhsa_system_sgpr_workgroup_id_z 0
		.amdhsa_system_sgpr_workgroup_info 0
		.amdhsa_system_vgpr_workitem_id 0
		.amdhsa_next_free_vgpr 53
		.amdhsa_next_free_sgpr 105
		.amdhsa_reserve_vcc 1
		.amdhsa_float_round_mode_32 0
		.amdhsa_float_round_mode_16_64 0
		.amdhsa_float_denorm_mode_32 3
		.amdhsa_float_denorm_mode_16_64 3
		.amdhsa_dx10_clamp 1
		.amdhsa_ieee_mode 1
		.amdhsa_fp16_overflow 0
		.amdhsa_workgroup_processor_mode 1
		.amdhsa_memory_ordered 1
		.amdhsa_forward_progress 0
		.amdhsa_shared_vgpr_count 0
		.amdhsa_exception_fp_ieee_invalid_op 0
		.amdhsa_exception_fp_denorm_src 0
		.amdhsa_exception_fp_ieee_div_zero 0
		.amdhsa_exception_fp_ieee_overflow 0
		.amdhsa_exception_fp_ieee_underflow 0
		.amdhsa_exception_fp_ieee_inexact 0
		.amdhsa_exception_int_div_zero 0
	.end_amdhsa_kernel
	.section	.text._ZN2at6native12_GLOBAL__N_143distribution_elementwise_grid_stride_kernelIdLi2EZNS0_9templates4cuda20normal_and_transformIddPNS_17CUDAGeneratorImplEZZZNS4_17log_normal_kernelIS7_EEvRNS_18TensorIteratorBaseEddT_ENKUlvE_clEvENKUlvE_clEvEUldE_EEvSA_T1_T2_EUlP25hiprandStatePhilox4_32_10E_ZNS1_27distribution_nullary_kernelIdd15HIP_vector_typeIdLj2EES7_SJ_SE_EEvSA_SG_RKT3_T4_EUlidE0_EEvlNS_15PhiloxCudaStateESF_SG_,"axG",@progbits,_ZN2at6native12_GLOBAL__N_143distribution_elementwise_grid_stride_kernelIdLi2EZNS0_9templates4cuda20normal_and_transformIddPNS_17CUDAGeneratorImplEZZZNS4_17log_normal_kernelIS7_EEvRNS_18TensorIteratorBaseEddT_ENKUlvE_clEvENKUlvE_clEvEUldE_EEvSA_T1_T2_EUlP25hiprandStatePhilox4_32_10E_ZNS1_27distribution_nullary_kernelIdd15HIP_vector_typeIdLj2EES7_SJ_SE_EEvSA_SG_RKT3_T4_EUlidE0_EEvlNS_15PhiloxCudaStateESF_SG_,comdat
.Lfunc_end1:
	.size	_ZN2at6native12_GLOBAL__N_143distribution_elementwise_grid_stride_kernelIdLi2EZNS0_9templates4cuda20normal_and_transformIddPNS_17CUDAGeneratorImplEZZZNS4_17log_normal_kernelIS7_EEvRNS_18TensorIteratorBaseEddT_ENKUlvE_clEvENKUlvE_clEvEUldE_EEvSA_T1_T2_EUlP25hiprandStatePhilox4_32_10E_ZNS1_27distribution_nullary_kernelIdd15HIP_vector_typeIdLj2EES7_SJ_SE_EEvSA_SG_RKT3_T4_EUlidE0_EEvlNS_15PhiloxCudaStateESF_SG_, .Lfunc_end1-_ZN2at6native12_GLOBAL__N_143distribution_elementwise_grid_stride_kernelIdLi2EZNS0_9templates4cuda20normal_and_transformIddPNS_17CUDAGeneratorImplEZZZNS4_17log_normal_kernelIS7_EEvRNS_18TensorIteratorBaseEddT_ENKUlvE_clEvENKUlvE_clEvEUldE_EEvSA_T1_T2_EUlP25hiprandStatePhilox4_32_10E_ZNS1_27distribution_nullary_kernelIdd15HIP_vector_typeIdLj2EES7_SJ_SE_EEvSA_SG_RKT3_T4_EUlidE0_EEvlNS_15PhiloxCudaStateESF_SG_
                                        ; -- End function
	.section	.AMDGPU.csdata,"",@progbits
; Kernel info:
; codeLenInByte = 6648
; NumSgprs: 107
; NumVgprs: 53
; ScratchSize: 0
; MemoryBound: 0
; FloatMode: 240
; IeeeMode: 1
; LDSByteSize: 0 bytes/workgroup (compile time only)
; SGPRBlocks: 13
; VGPRBlocks: 6
; NumSGPRsForWavesPerEU: 107
; NumVGPRsForWavesPerEU: 53
; Occupancy: 16
; WaveLimiterHint : 1
; COMPUTE_PGM_RSRC2:SCRATCH_EN: 0
; COMPUTE_PGM_RSRC2:USER_SGPR: 15
; COMPUTE_PGM_RSRC2:TRAP_HANDLER: 0
; COMPUTE_PGM_RSRC2:TGID_X_EN: 1
; COMPUTE_PGM_RSRC2:TGID_Y_EN: 0
; COMPUTE_PGM_RSRC2:TGID_Z_EN: 0
; COMPUTE_PGM_RSRC2:TIDIG_COMP_CNT: 0
	.section	.text._ZN2at6native12_GLOBAL__N_143distribution_elementwise_grid_stride_kernelIdLi2EZNS0_9templates4cuda20normal_and_transformIddPNS_17CUDAGeneratorImplEZZZNS4_17log_normal_kernelIS7_EEvRNS_18TensorIteratorBaseEddT_ENKUlvE_clEvENKUlvE_clEvEUldE_EEvSA_T1_T2_EUlP25hiprandStatePhilox4_32_10E0_ZNS1_27distribution_nullary_kernelIdd15HIP_vector_typeIfLj4EES7_SJ_SE_EEvSA_SG_RKT3_T4_EUlidE_EEvlNS_15PhiloxCudaStateESF_SG_,"axG",@progbits,_ZN2at6native12_GLOBAL__N_143distribution_elementwise_grid_stride_kernelIdLi2EZNS0_9templates4cuda20normal_and_transformIddPNS_17CUDAGeneratorImplEZZZNS4_17log_normal_kernelIS7_EEvRNS_18TensorIteratorBaseEddT_ENKUlvE_clEvENKUlvE_clEvEUldE_EEvSA_T1_T2_EUlP25hiprandStatePhilox4_32_10E0_ZNS1_27distribution_nullary_kernelIdd15HIP_vector_typeIfLj4EES7_SJ_SE_EEvSA_SG_RKT3_T4_EUlidE_EEvlNS_15PhiloxCudaStateESF_SG_,comdat
	.globl	_ZN2at6native12_GLOBAL__N_143distribution_elementwise_grid_stride_kernelIdLi2EZNS0_9templates4cuda20normal_and_transformIddPNS_17CUDAGeneratorImplEZZZNS4_17log_normal_kernelIS7_EEvRNS_18TensorIteratorBaseEddT_ENKUlvE_clEvENKUlvE_clEvEUldE_EEvSA_T1_T2_EUlP25hiprandStatePhilox4_32_10E0_ZNS1_27distribution_nullary_kernelIdd15HIP_vector_typeIfLj4EES7_SJ_SE_EEvSA_SG_RKT3_T4_EUlidE_EEvlNS_15PhiloxCudaStateESF_SG_ ; -- Begin function _ZN2at6native12_GLOBAL__N_143distribution_elementwise_grid_stride_kernelIdLi2EZNS0_9templates4cuda20normal_and_transformIddPNS_17CUDAGeneratorImplEZZZNS4_17log_normal_kernelIS7_EEvRNS_18TensorIteratorBaseEddT_ENKUlvE_clEvENKUlvE_clEvEUldE_EEvSA_T1_T2_EUlP25hiprandStatePhilox4_32_10E0_ZNS1_27distribution_nullary_kernelIdd15HIP_vector_typeIfLj4EES7_SJ_SE_EEvSA_SG_RKT3_T4_EUlidE_EEvlNS_15PhiloxCudaStateESF_SG_
	.p2align	8
	.type	_ZN2at6native12_GLOBAL__N_143distribution_elementwise_grid_stride_kernelIdLi2EZNS0_9templates4cuda20normal_and_transformIddPNS_17CUDAGeneratorImplEZZZNS4_17log_normal_kernelIS7_EEvRNS_18TensorIteratorBaseEddT_ENKUlvE_clEvENKUlvE_clEvEUldE_EEvSA_T1_T2_EUlP25hiprandStatePhilox4_32_10E0_ZNS1_27distribution_nullary_kernelIdd15HIP_vector_typeIfLj4EES7_SJ_SE_EEvSA_SG_RKT3_T4_EUlidE_EEvlNS_15PhiloxCudaStateESF_SG_,@function
_ZN2at6native12_GLOBAL__N_143distribution_elementwise_grid_stride_kernelIdLi2EZNS0_9templates4cuda20normal_and_transformIddPNS_17CUDAGeneratorImplEZZZNS4_17log_normal_kernelIS7_EEvRNS_18TensorIteratorBaseEddT_ENKUlvE_clEvENKUlvE_clEvEUldE_EEvSA_T1_T2_EUlP25hiprandStatePhilox4_32_10E0_ZNS1_27distribution_nullary_kernelIdd15HIP_vector_typeIfLj4EES7_SJ_SE_EEvSA_SG_RKT3_T4_EUlidE_EEvlNS_15PhiloxCudaStateESF_SG_: ; @_ZN2at6native12_GLOBAL__N_143distribution_elementwise_grid_stride_kernelIdLi2EZNS0_9templates4cuda20normal_and_transformIddPNS_17CUDAGeneratorImplEZZZNS4_17log_normal_kernelIS7_EEvRNS_18TensorIteratorBaseEddT_ENKUlvE_clEvENKUlvE_clEvEUldE_EEvSA_T1_T2_EUlP25hiprandStatePhilox4_32_10E0_ZNS1_27distribution_nullary_kernelIdd15HIP_vector_typeIfLj4EES7_SJ_SE_EEvSA_SG_RKT3_T4_EUlidE_EEvlNS_15PhiloxCudaStateESF_SG_
; %bb.0:
	s_clause 0x2
	s_load_b64 s[8:9], s[0:1], 0x10
	s_load_b128 s[4:7], s[0:1], 0x0
	s_load_b32 s2, s[0:1], 0x20
	s_waitcnt lgkmcnt(0)
	v_dual_mov_b32 v2, s8 :: v_dual_mov_b32 v3, s9
	v_dual_mov_b32 v8, s7 :: v_dual_mov_b32 v7, s6
	s_bitcmp0_b32 s2, 0
	s_mov_b32 s2, 0
	s_cbranch_scc1 .LBB2_2
; %bb.1:
	v_dual_mov_b32 v1, s8 :: v_dual_mov_b32 v2, s9
	v_dual_mov_b32 v4, s6 :: v_dual_mov_b32 v5, s7
	s_load_b64 s[6:7], s[0:1], 0x18
	flat_load_b64 v[2:3], v[1:2]
	flat_load_b64 v[7:8], v[4:5]
	s_waitcnt vmcnt(1) lgkmcnt(0)
	v_add_co_u32 v2, vcc_lo, v2, s6
	v_add_co_ci_u32_e32 v3, vcc_lo, s7, v3, vcc_lo
.LBB2_2:
	s_clause 0x1
	s_load_b32 s3, s[0:1], 0x5c
	s_load_b32 s39, s[0:1], 0x50
	s_waitcnt lgkmcnt(0)
	s_and_b32 s38, s3, 0xffff
	s_add_u32 s6, s4, -1
	s_mul_i32 s33, s39, s38
	s_addc_u32 s3, s5, -1
	s_lshl_b32 s40, s33, 1
	s_cmp_lg_u64 s[2:3], 0
	s_cbranch_scc0 .LBB2_23
; %bb.3:
	v_cvt_f32_ubyte0_e32 v1, 0
	v_cvt_f32_u32_e32 v4, s40
	s_sub_u32 s8, 0, s40
	s_subb_u32 s9, 0, 0
	s_delay_alu instid0(VALU_DEP_1) | instskip(NEXT) | instid1(VALU_DEP_1)
	v_fmamk_f32 v1, v1, 0x4f800000, v4
	v_rcp_f32_e32 v1, v1
	s_waitcnt_depctr 0xfff
	v_mul_f32_e32 v1, 0x5f7ffffc, v1
	s_delay_alu instid0(VALU_DEP_1) | instskip(NEXT) | instid1(VALU_DEP_1)
	v_mul_f32_e32 v4, 0x2f800000, v1
	v_trunc_f32_e32 v4, v4
	s_delay_alu instid0(VALU_DEP_1) | instskip(SKIP_1) | instid1(VALU_DEP_2)
	v_fmamk_f32 v1, v4, 0xcf800000, v1
	v_cvt_u32_f32_e32 v4, v4
	v_cvt_u32_f32_e32 v1, v1
	s_delay_alu instid0(VALU_DEP_2) | instskip(NEXT) | instid1(VALU_DEP_2)
	v_readfirstlane_b32 s2, v4
	v_readfirstlane_b32 s7, v1
	s_delay_alu instid0(VALU_DEP_2) | instskip(NEXT) | instid1(VALU_DEP_1)
	s_mul_i32 s10, s8, s2
	s_mul_hi_u32 s12, s8, s7
	s_mul_i32 s11, s9, s7
	s_add_i32 s10, s12, s10
	s_mul_i32 s13, s8, s7
	s_add_i32 s10, s10, s11
	s_mul_hi_u32 s12, s7, s13
	s_mul_hi_u32 s14, s2, s13
	s_mul_i32 s11, s2, s13
	s_mul_hi_u32 s13, s7, s10
	s_mul_i32 s7, s7, s10
	s_mul_hi_u32 s16, s2, s10
	s_add_u32 s7, s12, s7
	s_addc_u32 s12, 0, s13
	s_add_u32 s7, s7, s11
	s_mul_i32 s10, s2, s10
	s_addc_u32 s7, s12, s14
	s_addc_u32 s11, s16, 0
	s_add_u32 s7, s7, s10
	s_addc_u32 s10, 0, s11
	v_add_co_u32 v1, s7, v1, s7
	s_delay_alu instid0(VALU_DEP_1) | instskip(SKIP_1) | instid1(VALU_DEP_1)
	s_cmp_lg_u32 s7, 0
	s_addc_u32 s2, s2, s10
	v_readfirstlane_b32 s7, v1
	s_mul_i32 s10, s8, s2
	s_delay_alu instid0(VALU_DEP_1)
	s_mul_hi_u32 s11, s8, s7
	s_mul_i32 s9, s9, s7
	s_add_i32 s10, s11, s10
	s_mul_i32 s8, s8, s7
	s_add_i32 s10, s10, s9
	s_mul_hi_u32 s11, s2, s8
	s_mul_i32 s12, s2, s8
	s_mul_hi_u32 s8, s7, s8
	s_mul_hi_u32 s13, s7, s10
	s_mul_i32 s7, s7, s10
	s_mul_hi_u32 s9, s2, s10
	s_add_u32 s7, s8, s7
	s_addc_u32 s8, 0, s13
	s_add_u32 s7, s7, s12
	s_mul_i32 s10, s2, s10
	s_addc_u32 s7, s8, s11
	s_addc_u32 s8, s9, 0
	s_add_u32 s7, s7, s10
	s_addc_u32 s8, 0, s8
	v_add_co_u32 v1, s7, v1, s7
	s_delay_alu instid0(VALU_DEP_1) | instskip(SKIP_2) | instid1(VALU_DEP_1)
	s_cmp_lg_u32 s7, 0
	s_addc_u32 s7, s2, s8
	s_ashr_i32 s8, s3, 31
	v_readfirstlane_b32 s10, v1
	s_add_u32 s2, s6, s8
	s_mov_b32 s9, s8
	s_addc_u32 s3, s3, s8
	s_delay_alu instid0(SALU_CYCLE_1) | instskip(NEXT) | instid1(SALU_CYCLE_1)
	s_xor_b64 s[2:3], s[2:3], s[8:9]
	s_mul_i32 s12, s2, s7
	s_mul_hi_u32 s13, s2, s10
	s_mul_hi_u32 s11, s2, s7
	;; [unrolled: 1-line block ×3, first 2 shown]
	s_mul_i32 s10, s3, s10
	s_add_u32 s12, s13, s12
	s_addc_u32 s11, 0, s11
	s_mul_hi_u32 s14, s3, s7
	s_add_u32 s10, s12, s10
	s_mul_i32 s7, s3, s7
	s_addc_u32 s10, s11, s16
	s_addc_u32 s11, s14, 0
	s_add_u32 s7, s10, s7
	s_addc_u32 s10, 0, s11
	s_mul_i32 s12, s40, s7
	s_add_u32 s11, s7, 1
	v_sub_co_u32 v1, s2, s2, s12
	s_mul_hi_u32 s12, s40, s7
	s_addc_u32 s13, s10, 0
	s_mul_i32 s14, s40, s10
	s_delay_alu instid0(VALU_DEP_1)
	v_sub_co_u32 v4, s16, v1, s40
	s_add_u32 s17, s7, 2
	s_addc_u32 s18, s10, 0
	s_add_i32 s12, s12, s14
	s_cmp_lg_u32 s2, 0
	v_readfirstlane_b32 s2, v4
	s_subb_u32 s3, s3, s12
	s_cmp_lg_u32 s16, 0
	s_subb_u32 s12, s3, 0
	s_delay_alu instid0(VALU_DEP_1) | instskip(SKIP_4) | instid1(SALU_CYCLE_1)
	s_cmp_ge_u32 s2, s40
	s_cselect_b32 s2, -1, 0
	s_cmp_eq_u32 s12, 0
	v_readfirstlane_b32 s12, v1
	s_cselect_b32 s2, s2, -1
	s_cmp_lg_u32 s2, 0
	s_cselect_b32 s2, s17, s11
	s_cselect_b32 s11, s18, s13
	s_cmp_ge_u32 s12, s40
	s_cselect_b32 s12, -1, 0
	s_cmp_eq_u32 s3, 0
	s_cselect_b32 s3, s12, -1
	s_delay_alu instid0(SALU_CYCLE_1) | instskip(SKIP_2) | instid1(SALU_CYCLE_1)
	s_cmp_lg_u32 s3, 0
	s_cselect_b32 s3, s11, s10
	s_cselect_b32 s2, s2, s7
	s_xor_b64 s[2:3], s[2:3], s[8:9]
	s_delay_alu instid0(SALU_CYCLE_1)
	s_sub_u32 s2, s2, s8
	s_subb_u32 s3, s3, s8
	s_cbranch_execnz .LBB2_5
.LBB2_4:
	v_cvt_f32_u32_e32 v1, s40
	s_sub_i32 s3, 0, s40
	s_delay_alu instid0(VALU_DEP_1) | instskip(SKIP_2) | instid1(VALU_DEP_1)
	v_rcp_iflag_f32_e32 v1, v1
	s_waitcnt_depctr 0xfff
	v_mul_f32_e32 v1, 0x4f7ffffe, v1
	v_cvt_u32_f32_e32 v1, v1
	s_delay_alu instid0(VALU_DEP_1) | instskip(NEXT) | instid1(VALU_DEP_1)
	v_readfirstlane_b32 s2, v1
	s_mul_i32 s3, s3, s2
	s_delay_alu instid0(SALU_CYCLE_1) | instskip(NEXT) | instid1(SALU_CYCLE_1)
	s_mul_hi_u32 s3, s2, s3
	s_add_i32 s2, s2, s3
	s_delay_alu instid0(SALU_CYCLE_1) | instskip(NEXT) | instid1(SALU_CYCLE_1)
	s_mul_hi_u32 s2, s6, s2
	s_mul_i32 s3, s2, s40
	s_delay_alu instid0(SALU_CYCLE_1)
	s_sub_i32 s3, s6, s3
	s_add_i32 s6, s2, 1
	s_sub_i32 s7, s3, s40
	s_cmp_ge_u32 s3, s40
	s_cselect_b32 s2, s6, s2
	s_cselect_b32 s3, s7, s3
	s_add_i32 s6, s2, 1
	s_cmp_ge_u32 s3, s40
	s_mov_b32 s3, 0
	s_cselect_b32 s2, s6, s2
.LBB2_5:
	v_mov_b32_e32 v1, 0
	s_add_u32 s2, s2, 1
	s_addc_u32 s3, s3, 0
	s_mul_hi_u32 s6, s33, s2
	s_mul_i32 s3, s33, s3
	v_mad_u64_u32 v[9:10], null, s38, s15, v[0:1]
	s_mul_hi_u32 s7, s39, s38
	s_add_i32 s3, s6, s3
	s_mul_i32 s7, s7, s2
	s_mul_i32 s2, s33, s2
	s_add_i32 s3, s3, s7
	s_mov_b32 s6, exec_lo
	s_lshl_b64 s[2:3], s[2:3], 1
	s_delay_alu instid0(SALU_CYCLE_1)
	v_cmpx_gt_i64_e64 s[2:3], v[9:10]
	s_cbranch_execz .LBB2_22
; %bb.6:
	v_alignbit_b32 v13, v3, v2, 2
	v_mad_u64_u32 v[11:12], null, 0xcd9e8d57, v9, 0
	v_lshrrev_b32_e32 v14, 2, v3
	s_waitcnt vmcnt(0)
	v_mov_b32_e32 v35, v8
	v_mad_u64_u32 v[4:5], null, 0xd2511f53, v13, 0
	v_add_co_u32 v16, null, 0x9e3779b9, v7
	v_xor3_b32 v3, v7, v12, v14
	s_delay_alu instid0(VALU_DEP_4) | instskip(SKIP_2) | instid1(VALU_DEP_4)
	v_add_co_u32 v15, null, 0xbb67ae85, v35
	v_and_b32_e32 v17, 3, v2
	v_xor_b32_e32 v1, v5, v8
	v_mad_u64_u32 v[5:6], null, 0xd2511f53, v3, 0
	v_add_co_u32 v18, null, 0x3c6ef372, v7
	s_delay_alu instid0(VALU_DEP_3) | instskip(SKIP_2) | instid1(VALU_DEP_3)
	v_xor_b32_e32 v1, v1, v10
	v_add_co_u32 v20, null, 0x76cf5d0a, v35
	v_add_co_u32 v24, null, 0xdaa66d2b, v7
	v_mad_u64_u32 v[22:23], null, 0xcd9e8d57, v1, 0
	v_xor3_b32 v3, v15, v6, v4
	v_add_co_u32 v26, null, 0x78dde6e4, v7
	v_add_co_u32 v28, null, 0xed9eba14, v35
	s_delay_alu instid0(VALU_DEP_3) | instskip(SKIP_3) | instid1(VALU_DEP_3)
	v_mad_u64_u32 v[1:2], null, 0xcd9e8d57, v3, 0
	v_xor3_b32 v6, v16, v23, v11
	v_add_co_u32 v23, null, 0x32370b8f, v35
	v_add_co_u32 v25, null, 0x1715609d, v7
	v_mad_u64_u32 v[3:4], null, 0xd2511f53, v6, 0
	v_xor3_b32 v2, v18, v2, v22
	v_add_co_u32 v30, null, 0xa9066899, v35
	v_add_co_u32 v27, null, 0xb54cda56, v7
	v_add_co_u32 v31, null, 0x646e171e, v35
	v_xor3_b32 v6, v20, v4, v5
	v_mad_u64_u32 v[4:5], null, 0xd2511f53, v2, 0
	v_add_co_u32 v22, null, 0x5384540f, v7
	s_delay_alu instid0(VALU_DEP_3) | instskip(SKIP_1) | instid1(VALU_DEP_4)
	v_mad_u64_u32 v[11:12], null, 0xcd9e8d57, v6, 0
	v_add_co_u32 v32, null, 0x1fd5c5a3, v35
	v_xor3_b32 v3, v23, v5, v3
	s_clause 0x1
	s_load_b64 s[6:7], s[0:1], 0x30
	s_load_b32 s41, s[0:1], 0x38
	v_add_co_u32 v29, null, 0xf1bbcdc8, v7
	s_delay_alu instid0(VALU_DEP_4) | instskip(SKIP_3) | instid1(VALU_DEP_2)
	v_xor3_b32 v12, v24, v12, v1
	v_mad_u64_u32 v[1:2], null, 0xcd9e8d57, v3, 0
	s_load_b128 s[8:11], s[0:1], 0x40
	s_add_i32 s0, s15, s39
	v_mad_u64_u32 v[5:6], null, 0xd2511f53, v12, 0
	v_add_nc_u32_e32 v19, 0x8ff34781, v7
	v_add_nc_u32_e32 v21, 0x96a522ad, v8
	s_delay_alu instid0(VALU_DEP_4) | instskip(SKIP_3) | instid1(VALU_DEP_3)
	v_xor3_b32 v11, v26, v2, v11
	v_mad_u64_u32 v[2:3], null, s15, s38, v[0:1]
	s_mov_b32 s12, 0x652b82fe
	v_xor3_b32 v6, v28, v6, v4
	v_mad_u64_u32 v[3:4], null, 0xd2511f53, v11, 0
	s_mov_b32 s14, 0xfefa39ef
	s_mov_b32 s16, 0x3b39803f
	s_delay_alu instid0(VALU_DEP_2) | instskip(SKIP_2) | instid1(VALU_DEP_2)
	v_mad_u64_u32 v[11:12], null, 0xcd9e8d57, v6, 0
	s_mov_b32 s18, 0xfca7ab0c
	s_mov_b32 s20, 0x6a5dcb37
	v_xor3_b32 v6, v30, v4, v5
	s_mov_b32 s22, 0x623fde64
	s_mov_b32 s24, 0x7c89e6b0
	;; [unrolled: 1-line block ×3, first 2 shown]
	s_delay_alu instid0(VALU_DEP_2) | instskip(SKIP_3) | instid1(VALU_DEP_2)
	v_xor3_b32 v1, v25, v12, v1
	v_mad_u64_u32 v[4:5], null, 0xcd9e8d57, v6, 0
	s_mov_b32 s28, 0x1852b7b0
	s_mov_b32 s30, 0x11122322
	v_mad_u64_u32 v[33:34], null, 0xd2511f53, v1, 0
	s_mov_b32 s34, 0x555502a1
	s_mov_b32 s36, 0x55555511
	s_delay_alu instid0(VALU_DEP_2) | instskip(SKIP_3) | instid1(VALU_DEP_2)
	v_xor3_b32 v1, v27, v5, v11
	s_mov_b32 s13, 0x3ff71547
	s_mov_b32 s15, 0xbfe62e42
	;; [unrolled: 1-line block ×3, first 2 shown]
	v_xor3_b32 v3, v31, v34, v3
	v_mad_u64_u32 v[5:6], null, 0xd2511f53, v1, 0
	s_waitcnt lgkmcnt(0)
	v_mul_lo_u32 v34, s41, v2
	s_mov_b32 s19, 0x3e928af3
	v_mad_u64_u32 v[11:12], null, 0xcd9e8d57, v3, 0
	s_mov_b32 s21, 0x3e5ade15
	s_mov_b32 s23, 0x3ec71dee
	s_delay_alu instid0(VALU_DEP_3) | instskip(SKIP_2) | instid1(VALU_DEP_3)
	v_xor3_b32 v1, v32, v6, v33
	v_add_co_u32 v33, null, 0xdb3d7428, v35
	s_mov_b32 s25, 0x3efa0199
	v_xor3_b32 v6, v22, v12, v4
	s_delay_alu instid0(VALU_DEP_3) | instskip(SKIP_2) | instid1(VALU_DEP_2)
	v_mad_u64_u32 v[3:4], null, 0xcd9e8d57, v1, 0
	s_mov_b32 s27, 0x3f2a01a0
	s_mov_b32 s29, 0x3f56c16c
	v_mad_u64_u32 v[36:37], null, 0xd2511f53, v6, 0
	s_mov_b32 s31, 0x3f811111
	s_mov_b32 s35, 0x3fa55555
	s_delay_alu instid0(VALU_DEP_2) | instskip(SKIP_2) | instid1(VALU_DEP_3)
	v_xor3_b32 v4, v29, v4, v11
	v_mad_u64_u32 v[11:12], null, s0, s38, v[0:1]
	s_mul_i32 s0, s39, s41
	v_xor3_b32 v6, v33, v37, v5
	s_delay_alu instid0(VALU_DEP_3) | instskip(SKIP_2) | instid1(VALU_DEP_3)
	v_mad_u64_u32 v[0:1], null, 0xd2511f53, v4, 0
	v_mov_b32_e32 v37, v10
	s_mul_i32 s0, s0, s38
	v_mad_u64_u32 v[4:5], null, 0xcd9e8d57, v6, 0
	v_mul_lo_u32 v35, s41, v11
	s_mov_b32 s38, 11
	s_delay_alu instid0(VALU_DEP_4) | instskip(SKIP_3) | instid1(VALU_DEP_3)
	v_mov_b32_e32 v6, v0
	s_mov_b32 s37, 0x3fc55555
	s_mov_b32 s39, 0x3fe00000
	;; [unrolled: 1-line block ×3, first 2 shown]
	v_xor3_b32 v3, v5, v3, v19
	v_xor3_b32 v5, v1, v36, v21
	v_mov_b32_e32 v36, v9
	s_lshl_b32 s42, s0, 1
	s_mov_b32 s43, 0
	s_branch .LBB2_8
.LBB2_7:                                ;   in Loop: Header=BB2_8 Depth=1
	s_or_b32 exec_lo, exec_lo, s44
	v_add_co_u32 v9, vcc_lo, v9, s40
	v_add_co_ci_u32_e32 v10, vcc_lo, 0, v10, vcc_lo
	v_mov_b32_e32 v3, v11
	s_add_i32 s43, s43, s42
	s_waitcnt_vscnt null, 0x0
	s_delay_alu instid0(VALU_DEP_2)
	v_cmp_le_i64_e32 vcc_lo, s[2:3], v[9:10]
	s_barrier
	v_mov_b32_e32 v6, v3
	v_dual_mov_b32 v5, v2 :: v_dual_mov_b32 v4, v1
	v_mov_b32_e32 v3, v0
	s_or_b32 s41, vcc_lo, s41
	buffer_gl0_inv
	s_and_not1_b32 exec_lo, exec_lo, s41
	s_cbranch_execz .LBB2_22
.LBB2_8:                                ; =>This Inner Loop Header: Depth=1
	v_add_co_u32 v13, vcc_lo, v13, 1
	s_delay_alu instid0(VALU_DEP_1) | instskip(SKIP_2) | instid1(VALU_DEP_1)
	v_cndmask_b32_e64 v0, 0, 1, vcc_lo
	v_add_co_ci_u32_e32 v14, vcc_lo, 0, v14, vcc_lo
	s_mov_b32 s0, exec_lo
	v_cmp_eq_u32_e32 vcc_lo, 0, v14
	s_delay_alu instid0(VALU_DEP_3) | instskip(NEXT) | instid1(VALU_DEP_1)
	v_cndmask_b32_e32 v0, 0, v0, vcc_lo
	v_add_nc_u32_e32 v36, v0, v36
	s_delay_alu instid0(VALU_DEP_1) | instskip(SKIP_2) | instid1(VALU_DEP_2)
	v_cmp_eq_u32_e32 vcc_lo, 0, v36
	v_mad_u64_u32 v[11:12], null, 0xcd9e8d57, v36, 0
	v_cndmask_b32_e32 v0, 0, v0, vcc_lo
	v_xor3_b32 v12, v12, v7, v14
	s_delay_alu instid0(VALU_DEP_2) | instskip(SKIP_1) | instid1(VALU_DEP_1)
	v_add_nc_u32_e32 v37, v0, v37
	v_mad_u64_u32 v[0:1], null, 0xd2511f53, v13, 0
	v_xor_b32_e32 v1, v1, v8
	s_delay_alu instid0(VALU_DEP_1) | instskip(NEXT) | instid1(VALU_DEP_1)
	v_xor_b32_e32 v38, v37, v1
	v_mad_u64_u32 v[1:2], null, 0xcd9e8d57, v38, 0
	v_mad_u64_u32 v[38:39], null, 0xd2511f53, v12, 0
	s_delay_alu instid0(VALU_DEP_2) | instskip(NEXT) | instid1(VALU_DEP_2)
	v_xor3_b32 v2, v16, v2, v11
	v_xor3_b32 v0, v15, v39, v0
	s_delay_alu instid0(VALU_DEP_2) | instskip(NEXT) | instid1(VALU_DEP_2)
	v_mad_u64_u32 v[11:12], null, 0xd2511f53, v2, 0
	v_mad_u64_u32 v[39:40], null, 0xcd9e8d57, v0, 0
	s_delay_alu instid0(VALU_DEP_2) | instskip(NEXT) | instid1(VALU_DEP_2)
	v_xor3_b32 v2, v20, v12, v38
	v_xor3_b32 v12, v18, v40, v1
	s_delay_alu instid0(VALU_DEP_2) | instskip(NEXT) | instid1(VALU_DEP_2)
	;; [unrolled: 6-line block ×8, first 2 shown]
	v_mad_u64_u32 v[1:2], null, 0xcd9e8d57, v0, 0
	v_mad_u64_u32 v[11:12], null, 0xd2511f53, v38, 0
	s_delay_alu instid0(VALU_DEP_2) | instskip(NEXT) | instid1(VALU_DEP_2)
	v_xor3_b32 v0, v2, v41, v19
	v_xor3_b32 v2, v12, v39, v21
	v_cmpx_lt_i32_e32 1, v17
	s_xor_b32 s0, exec_lo, s0
	s_cbranch_execz .LBB2_14
; %bb.9:                                ;   in Loop: Header=BB2_8 Depth=1
	s_mov_b32 s1, exec_lo
	v_cmpx_lt_i32_e32 2, v17
	s_xor_b32 s1, exec_lo, s1
; %bb.10:                               ;   in Loop: Header=BB2_8 Depth=1
	v_dual_mov_b32 v3, v6 :: v_dual_mov_b32 v4, v0
; %bb.11:                               ;   in Loop: Header=BB2_8 Depth=1
	s_and_not1_saveexec_b32 s1, s1
; %bb.12:                               ;   in Loop: Header=BB2_8 Depth=1
	v_dual_mov_b32 v3, v5 :: v_dual_mov_b32 v4, v6
; %bb.13:                               ;   in Loop: Header=BB2_8 Depth=1
	s_or_b32 exec_lo, exec_lo, s1
.LBB2_14:                               ;   in Loop: Header=BB2_8 Depth=1
	s_and_not1_saveexec_b32 s0, s0
	s_cbranch_execz .LBB2_18
; %bb.15:                               ;   in Loop: Header=BB2_8 Depth=1
	s_mov_b32 s1, exec_lo
	v_cmpx_eq_u32_e32 1, v17
; %bb.16:                               ;   in Loop: Header=BB2_8 Depth=1
	v_dual_mov_b32 v3, v4 :: v_dual_mov_b32 v4, v5
; %bb.17:                               ;   in Loop: Header=BB2_8 Depth=1
	s_or_b32 exec_lo, exec_lo, s1
.LBB2_18:                               ;   in Loop: Header=BB2_8 Depth=1
	s_delay_alu instid0(SALU_CYCLE_1) | instskip(NEXT) | instid1(VALU_DEP_1)
	s_or_b32 exec_lo, exec_lo, s0
	v_cvt_f32_u32_e32 v3, v3
	s_delay_alu instid0(VALU_DEP_2) | instskip(SKIP_1) | instid1(VALU_DEP_2)
	v_cvt_f32_u32_e32 v4, v4
	s_mov_b32 s44, exec_lo
	v_fmaak_f32 v3, 0x2f800000, v3, 0x2f800000
	s_delay_alu instid0(VALU_DEP_2) | instskip(NEXT) | instid1(VALU_DEP_2)
	v_fmaak_f32 v4, 0x30c90fdb, v4, 0x30c90fdb
	v_cmp_gt_f32_e32 vcc_lo, 0x800000, v3
	s_delay_alu instid0(VALU_DEP_2) | instskip(SKIP_1) | instid1(VALU_DEP_1)
	v_mul_f32_e32 v4, 0.15915494, v4
	v_cndmask_b32_e64 v5, 1.0, 0x4f800000, vcc_lo
	v_mul_f32_e32 v3, v3, v5
	s_delay_alu instid0(VALU_DEP_1) | instskip(SKIP_2) | instid1(VALU_DEP_1)
	v_log_f32_e32 v3, v3
	s_waitcnt_depctr 0xfff
	v_mul_f32_e32 v5, 0x3f317217, v3
	v_fma_f32 v6, 0x3f317217, v3, -v5
	s_delay_alu instid0(VALU_DEP_1) | instskip(NEXT) | instid1(VALU_DEP_1)
	v_fmac_f32_e32 v6, 0x3377d1cf, v3
	v_add_f32_e32 v5, v5, v6
	v_cndmask_b32_e64 v6, 0, 0x41b17218, vcc_lo
	v_cmp_gt_f32_e64 vcc_lo, 0x7f800000, |v3|
	s_delay_alu instid0(VALU_DEP_3) | instskip(NEXT) | instid1(VALU_DEP_1)
	v_cndmask_b32_e32 v3, v3, v5, vcc_lo
	v_sub_f32_e32 v3, v3, v6
	s_delay_alu instid0(VALU_DEP_1) | instskip(NEXT) | instid1(VALU_DEP_1)
	v_mul_f32_e32 v3, -2.0, v3
	v_mul_f32_e32 v5, 0x4f800000, v3
	v_cmp_gt_f32_e32 vcc_lo, 0xf800000, v3
	s_delay_alu instid0(VALU_DEP_2) | instskip(NEXT) | instid1(VALU_DEP_1)
	v_cndmask_b32_e32 v3, v3, v5, vcc_lo
	v_sqrt_f32_e32 v5, v3
	s_waitcnt_depctr 0xfff
	v_add_nc_u32_e32 v6, -1, v5
	v_add_nc_u32_e32 v12, 1, v5
	s_delay_alu instid0(VALU_DEP_2) | instskip(NEXT) | instid1(VALU_DEP_2)
	v_fma_f32 v38, -v6, v5, v3
	v_fma_f32 v39, -v12, v5, v3
	s_delay_alu instid0(VALU_DEP_2) | instskip(NEXT) | instid1(VALU_DEP_1)
	v_cmp_ge_f32_e64 s0, 0, v38
	v_cndmask_b32_e64 v5, v5, v6, s0
	s_delay_alu instid0(VALU_DEP_3) | instskip(NEXT) | instid1(VALU_DEP_1)
	v_cmp_lt_f32_e64 s0, 0, v39
	v_cndmask_b32_e64 v5, v5, v12, s0
	v_cmp_class_f32_e64 s0, v3, 0x260
	s_delay_alu instid0(VALU_DEP_2) | instskip(NEXT) | instid1(VALU_DEP_1)
	v_mul_f32_e32 v6, 0x37800000, v5
	v_cndmask_b32_e32 v5, v5, v6, vcc_lo
	s_delay_alu instid0(VALU_DEP_1)
	v_cndmask_b32_e64 v3, v5, v3, s0
	v_cmpx_gt_i64_e64 s[4:5], v[9:10]
	s_cbranch_execz .LBB2_20
; %bb.19:                               ;   in Loop: Header=BB2_8 Depth=1
	v_sin_f32_e32 v5, v4
	s_waitcnt_depctr 0xfff
	v_mul_f32_e32 v5, v5, v3
	s_delay_alu instid0(VALU_DEP_1) | instskip(NEXT) | instid1(VALU_DEP_1)
	v_cvt_f64_f32_e32 v[5:6], v5
	v_fma_f64 v[5:6], s[10:11], v[5:6], s[8:9]
	s_delay_alu instid0(VALU_DEP_1) | instskip(SKIP_2) | instid1(VALU_DEP_3)
	v_mul_f64 v[38:39], v[5:6], s[12:13]
	v_cmp_nlt_f64_e32 vcc_lo, 0x40900000, v[5:6]
	v_cmp_ngt_f64_e64 s0, 0xc090cc00, v[5:6]
	v_rndne_f64_e32 v[38:39], v[38:39]
	s_delay_alu instid0(VALU_DEP_1) | instskip(SKIP_2) | instid1(VALU_DEP_1)
	v_fma_f64 v[40:41], v[38:39], s[14:15], v[5:6]
	v_cvt_i32_f64_e32 v12, v[38:39]
	v_add_nc_u32_e32 v5, s43, v34
	v_ashrrev_i32_e32 v6, 31, v5
	v_add_co_u32 v5, s1, s6, v5
	s_delay_alu instid0(VALU_DEP_1) | instskip(SKIP_1) | instid1(VALU_DEP_1)
	v_add_co_ci_u32_e64 v6, s1, s7, v6, s1
	v_fma_f64 v[40:41], v[38:39], s[16:17], v[40:41]
	v_fma_f64 v[42:43], v[40:41], s[20:21], s[18:19]
	s_delay_alu instid0(VALU_DEP_1) | instskip(NEXT) | instid1(VALU_DEP_1)
	v_fma_f64 v[42:43], v[40:41], v[42:43], s[22:23]
	v_fma_f64 v[42:43], v[40:41], v[42:43], s[24:25]
	s_delay_alu instid0(VALU_DEP_1) | instskip(NEXT) | instid1(VALU_DEP_1)
	;; [unrolled: 3-line block ×5, first 2 shown]
	v_fma_f64 v[42:43], v[40:41], v[42:43], 1.0
	v_fma_f64 v[38:39], v[40:41], v[42:43], 1.0
	s_delay_alu instid0(VALU_DEP_1) | instskip(NEXT) | instid1(VALU_DEP_1)
	v_ldexp_f64 v[38:39], v[38:39], v12
	v_cndmask_b32_e32 v12, 0x7ff00000, v39, vcc_lo
	s_and_b32 vcc_lo, s0, vcc_lo
	s_delay_alu instid0(VALU_DEP_2) | instskip(NEXT) | instid1(VALU_DEP_2)
	v_cndmask_b32_e32 v38, 0, v38, vcc_lo
	v_cndmask_b32_e64 v39, 0, v12, s0
	global_store_b64 v[5:6], v[38:39], off
.LBB2_20:                               ;   in Loop: Header=BB2_8 Depth=1
	s_or_b32 exec_lo, exec_lo, s44
	v_add_co_u32 v5, vcc_lo, s33, v9
	v_add_co_ci_u32_e32 v6, vcc_lo, 0, v10, vcc_lo
	s_mov_b32 s44, exec_lo
	s_delay_alu instid0(VALU_DEP_1)
	v_cmpx_gt_i64_e64 s[4:5], v[5:6]
	s_cbranch_execz .LBB2_7
; %bb.21:                               ;   in Loop: Header=BB2_8 Depth=1
	v_cos_f32_e32 v4, v4
	s_waitcnt_depctr 0xfff
	v_mul_f32_e32 v3, v4, v3
	s_delay_alu instid0(VALU_DEP_1) | instskip(NEXT) | instid1(VALU_DEP_1)
	v_cvt_f64_f32_e32 v[3:4], v3
	v_fma_f64 v[3:4], s[10:11], v[3:4], s[8:9]
	s_delay_alu instid0(VALU_DEP_1) | instskip(SKIP_2) | instid1(VALU_DEP_3)
	v_mul_f64 v[5:6], v[3:4], s[12:13]
	v_cmp_nlt_f64_e32 vcc_lo, 0x40900000, v[3:4]
	v_cmp_ngt_f64_e64 s0, 0xc090cc00, v[3:4]
	v_rndne_f64_e32 v[5:6], v[5:6]
	s_delay_alu instid0(VALU_DEP_1) | instskip(SKIP_2) | instid1(VALU_DEP_1)
	v_fma_f64 v[38:39], v[5:6], s[14:15], v[3:4]
	v_cvt_i32_f64_e32 v12, v[5:6]
	v_add_nc_u32_e32 v3, s43, v35
	v_ashrrev_i32_e32 v4, 31, v3
	v_add_co_u32 v3, s1, s6, v3
	s_delay_alu instid0(VALU_DEP_1) | instskip(SKIP_1) | instid1(VALU_DEP_1)
	v_add_co_ci_u32_e64 v4, s1, s7, v4, s1
	v_fma_f64 v[38:39], v[5:6], s[16:17], v[38:39]
	v_fma_f64 v[40:41], v[38:39], s[20:21], s[18:19]
	s_delay_alu instid0(VALU_DEP_1) | instskip(NEXT) | instid1(VALU_DEP_1)
	v_fma_f64 v[40:41], v[38:39], v[40:41], s[22:23]
	v_fma_f64 v[40:41], v[38:39], v[40:41], s[24:25]
	s_delay_alu instid0(VALU_DEP_1) | instskip(NEXT) | instid1(VALU_DEP_1)
	;; [unrolled: 3-line block ×5, first 2 shown]
	v_fma_f64 v[40:41], v[38:39], v[40:41], 1.0
	v_fma_f64 v[5:6], v[38:39], v[40:41], 1.0
	s_delay_alu instid0(VALU_DEP_1) | instskip(NEXT) | instid1(VALU_DEP_1)
	v_ldexp_f64 v[5:6], v[5:6], v12
	v_cndmask_b32_e32 v6, 0x7ff00000, v6, vcc_lo
	s_and_b32 vcc_lo, s0, vcc_lo
	s_delay_alu instid0(VALU_DEP_2) | instskip(NEXT) | instid1(VALU_DEP_2)
	v_cndmask_b32_e32 v5, 0, v5, vcc_lo
	v_cndmask_b32_e64 v6, 0, v6, s0
	global_store_b64 v[3:4], v[5:6], off
	s_branch .LBB2_7
.LBB2_22:
	s_endpgm
.LBB2_23:
                                        ; implicit-def: $sgpr2_sgpr3
	s_branch .LBB2_4
	.section	.rodata,"a",@progbits
	.p2align	6, 0x0
	.amdhsa_kernel _ZN2at6native12_GLOBAL__N_143distribution_elementwise_grid_stride_kernelIdLi2EZNS0_9templates4cuda20normal_and_transformIddPNS_17CUDAGeneratorImplEZZZNS4_17log_normal_kernelIS7_EEvRNS_18TensorIteratorBaseEddT_ENKUlvE_clEvENKUlvE_clEvEUldE_EEvSA_T1_T2_EUlP25hiprandStatePhilox4_32_10E0_ZNS1_27distribution_nullary_kernelIdd15HIP_vector_typeIfLj4EES7_SJ_SE_EEvSA_SG_RKT3_T4_EUlidE_EEvlNS_15PhiloxCudaStateESF_SG_
		.amdhsa_group_segment_fixed_size 0
		.amdhsa_private_segment_fixed_size 0
		.amdhsa_kernarg_size 336
		.amdhsa_user_sgpr_count 15
		.amdhsa_user_sgpr_dispatch_ptr 0
		.amdhsa_user_sgpr_queue_ptr 0
		.amdhsa_user_sgpr_kernarg_segment_ptr 1
		.amdhsa_user_sgpr_dispatch_id 0
		.amdhsa_user_sgpr_private_segment_size 0
		.amdhsa_wavefront_size32 1
		.amdhsa_uses_dynamic_stack 0
		.amdhsa_enable_private_segment 0
		.amdhsa_system_sgpr_workgroup_id_x 1
		.amdhsa_system_sgpr_workgroup_id_y 0
		.amdhsa_system_sgpr_workgroup_id_z 0
		.amdhsa_system_sgpr_workgroup_info 0
		.amdhsa_system_vgpr_workitem_id 0
		.amdhsa_next_free_vgpr 44
		.amdhsa_next_free_sgpr 45
		.amdhsa_reserve_vcc 1
		.amdhsa_float_round_mode_32 0
		.amdhsa_float_round_mode_16_64 0
		.amdhsa_float_denorm_mode_32 3
		.amdhsa_float_denorm_mode_16_64 3
		.amdhsa_dx10_clamp 1
		.amdhsa_ieee_mode 1
		.amdhsa_fp16_overflow 0
		.amdhsa_workgroup_processor_mode 1
		.amdhsa_memory_ordered 1
		.amdhsa_forward_progress 0
		.amdhsa_shared_vgpr_count 0
		.amdhsa_exception_fp_ieee_invalid_op 0
		.amdhsa_exception_fp_denorm_src 0
		.amdhsa_exception_fp_ieee_div_zero 0
		.amdhsa_exception_fp_ieee_overflow 0
		.amdhsa_exception_fp_ieee_underflow 0
		.amdhsa_exception_fp_ieee_inexact 0
		.amdhsa_exception_int_div_zero 0
	.end_amdhsa_kernel
	.section	.text._ZN2at6native12_GLOBAL__N_143distribution_elementwise_grid_stride_kernelIdLi2EZNS0_9templates4cuda20normal_and_transformIddPNS_17CUDAGeneratorImplEZZZNS4_17log_normal_kernelIS7_EEvRNS_18TensorIteratorBaseEddT_ENKUlvE_clEvENKUlvE_clEvEUldE_EEvSA_T1_T2_EUlP25hiprandStatePhilox4_32_10E0_ZNS1_27distribution_nullary_kernelIdd15HIP_vector_typeIfLj4EES7_SJ_SE_EEvSA_SG_RKT3_T4_EUlidE_EEvlNS_15PhiloxCudaStateESF_SG_,"axG",@progbits,_ZN2at6native12_GLOBAL__N_143distribution_elementwise_grid_stride_kernelIdLi2EZNS0_9templates4cuda20normal_and_transformIddPNS_17CUDAGeneratorImplEZZZNS4_17log_normal_kernelIS7_EEvRNS_18TensorIteratorBaseEddT_ENKUlvE_clEvENKUlvE_clEvEUldE_EEvSA_T1_T2_EUlP25hiprandStatePhilox4_32_10E0_ZNS1_27distribution_nullary_kernelIdd15HIP_vector_typeIfLj4EES7_SJ_SE_EEvSA_SG_RKT3_T4_EUlidE_EEvlNS_15PhiloxCudaStateESF_SG_,comdat
.Lfunc_end2:
	.size	_ZN2at6native12_GLOBAL__N_143distribution_elementwise_grid_stride_kernelIdLi2EZNS0_9templates4cuda20normal_and_transformIddPNS_17CUDAGeneratorImplEZZZNS4_17log_normal_kernelIS7_EEvRNS_18TensorIteratorBaseEddT_ENKUlvE_clEvENKUlvE_clEvEUldE_EEvSA_T1_T2_EUlP25hiprandStatePhilox4_32_10E0_ZNS1_27distribution_nullary_kernelIdd15HIP_vector_typeIfLj4EES7_SJ_SE_EEvSA_SG_RKT3_T4_EUlidE_EEvlNS_15PhiloxCudaStateESF_SG_, .Lfunc_end2-_ZN2at6native12_GLOBAL__N_143distribution_elementwise_grid_stride_kernelIdLi2EZNS0_9templates4cuda20normal_and_transformIddPNS_17CUDAGeneratorImplEZZZNS4_17log_normal_kernelIS7_EEvRNS_18TensorIteratorBaseEddT_ENKUlvE_clEvENKUlvE_clEvEUldE_EEvSA_T1_T2_EUlP25hiprandStatePhilox4_32_10E0_ZNS1_27distribution_nullary_kernelIdd15HIP_vector_typeIfLj4EES7_SJ_SE_EEvSA_SG_RKT3_T4_EUlidE_EEvlNS_15PhiloxCudaStateESF_SG_
                                        ; -- End function
	.section	.AMDGPU.csdata,"",@progbits
; Kernel info:
; codeLenInByte = 3500
; NumSgprs: 47
; NumVgprs: 44
; ScratchSize: 0
; MemoryBound: 0
; FloatMode: 240
; IeeeMode: 1
; LDSByteSize: 0 bytes/workgroup (compile time only)
; SGPRBlocks: 5
; VGPRBlocks: 5
; NumSGPRsForWavesPerEU: 47
; NumVGPRsForWavesPerEU: 44
; Occupancy: 16
; WaveLimiterHint : 0
; COMPUTE_PGM_RSRC2:SCRATCH_EN: 0
; COMPUTE_PGM_RSRC2:USER_SGPR: 15
; COMPUTE_PGM_RSRC2:TRAP_HANDLER: 0
; COMPUTE_PGM_RSRC2:TGID_X_EN: 1
; COMPUTE_PGM_RSRC2:TGID_Y_EN: 0
; COMPUTE_PGM_RSRC2:TGID_Z_EN: 0
; COMPUTE_PGM_RSRC2:TIDIG_COMP_CNT: 0
	.section	.text._ZN2at6native12_GLOBAL__N_143distribution_elementwise_grid_stride_kernelIdLi2EZNS0_9templates4cuda20normal_and_transformIddPNS_17CUDAGeneratorImplEZZZNS4_17log_normal_kernelIS7_EEvRNS_18TensorIteratorBaseEddT_ENKUlvE_clEvENKUlvE_clEvEUldE_EEvSA_T1_T2_EUlP25hiprandStatePhilox4_32_10E0_ZNS1_27distribution_nullary_kernelIdd15HIP_vector_typeIfLj4EES7_SJ_SE_EEvSA_SG_RKT3_T4_EUlidE0_EEvlNS_15PhiloxCudaStateESF_SG_,"axG",@progbits,_ZN2at6native12_GLOBAL__N_143distribution_elementwise_grid_stride_kernelIdLi2EZNS0_9templates4cuda20normal_and_transformIddPNS_17CUDAGeneratorImplEZZZNS4_17log_normal_kernelIS7_EEvRNS_18TensorIteratorBaseEddT_ENKUlvE_clEvENKUlvE_clEvEUldE_EEvSA_T1_T2_EUlP25hiprandStatePhilox4_32_10E0_ZNS1_27distribution_nullary_kernelIdd15HIP_vector_typeIfLj4EES7_SJ_SE_EEvSA_SG_RKT3_T4_EUlidE0_EEvlNS_15PhiloxCudaStateESF_SG_,comdat
	.globl	_ZN2at6native12_GLOBAL__N_143distribution_elementwise_grid_stride_kernelIdLi2EZNS0_9templates4cuda20normal_and_transformIddPNS_17CUDAGeneratorImplEZZZNS4_17log_normal_kernelIS7_EEvRNS_18TensorIteratorBaseEddT_ENKUlvE_clEvENKUlvE_clEvEUldE_EEvSA_T1_T2_EUlP25hiprandStatePhilox4_32_10E0_ZNS1_27distribution_nullary_kernelIdd15HIP_vector_typeIfLj4EES7_SJ_SE_EEvSA_SG_RKT3_T4_EUlidE0_EEvlNS_15PhiloxCudaStateESF_SG_ ; -- Begin function _ZN2at6native12_GLOBAL__N_143distribution_elementwise_grid_stride_kernelIdLi2EZNS0_9templates4cuda20normal_and_transformIddPNS_17CUDAGeneratorImplEZZZNS4_17log_normal_kernelIS7_EEvRNS_18TensorIteratorBaseEddT_ENKUlvE_clEvENKUlvE_clEvEUldE_EEvSA_T1_T2_EUlP25hiprandStatePhilox4_32_10E0_ZNS1_27distribution_nullary_kernelIdd15HIP_vector_typeIfLj4EES7_SJ_SE_EEvSA_SG_RKT3_T4_EUlidE0_EEvlNS_15PhiloxCudaStateESF_SG_
	.p2align	8
	.type	_ZN2at6native12_GLOBAL__N_143distribution_elementwise_grid_stride_kernelIdLi2EZNS0_9templates4cuda20normal_and_transformIddPNS_17CUDAGeneratorImplEZZZNS4_17log_normal_kernelIS7_EEvRNS_18TensorIteratorBaseEddT_ENKUlvE_clEvENKUlvE_clEvEUldE_EEvSA_T1_T2_EUlP25hiprandStatePhilox4_32_10E0_ZNS1_27distribution_nullary_kernelIdd15HIP_vector_typeIfLj4EES7_SJ_SE_EEvSA_SG_RKT3_T4_EUlidE0_EEvlNS_15PhiloxCudaStateESF_SG_,@function
_ZN2at6native12_GLOBAL__N_143distribution_elementwise_grid_stride_kernelIdLi2EZNS0_9templates4cuda20normal_and_transformIddPNS_17CUDAGeneratorImplEZZZNS4_17log_normal_kernelIS7_EEvRNS_18TensorIteratorBaseEddT_ENKUlvE_clEvENKUlvE_clEvEUldE_EEvSA_T1_T2_EUlP25hiprandStatePhilox4_32_10E0_ZNS1_27distribution_nullary_kernelIdd15HIP_vector_typeIfLj4EES7_SJ_SE_EEvSA_SG_RKT3_T4_EUlidE0_EEvlNS_15PhiloxCudaStateESF_SG_: ; @_ZN2at6native12_GLOBAL__N_143distribution_elementwise_grid_stride_kernelIdLi2EZNS0_9templates4cuda20normal_and_transformIddPNS_17CUDAGeneratorImplEZZZNS4_17log_normal_kernelIS7_EEvRNS_18TensorIteratorBaseEddT_ENKUlvE_clEvENKUlvE_clEvEUldE_EEvSA_T1_T2_EUlP25hiprandStatePhilox4_32_10E0_ZNS1_27distribution_nullary_kernelIdd15HIP_vector_typeIfLj4EES7_SJ_SE_EEvSA_SG_RKT3_T4_EUlidE0_EEvlNS_15PhiloxCudaStateESF_SG_
; %bb.0:
	s_clause 0x2
	s_load_b64 s[4:5], s[0:1], 0x10
	s_load_b128 s[16:19], s[0:1], 0x0
	s_load_b32 s2, s[0:1], 0x20
	s_waitcnt lgkmcnt(0)
	v_dual_mov_b32 v2, s4 :: v_dual_mov_b32 v3, s5
	v_dual_mov_b32 v7, s18 :: v_dual_mov_b32 v8, s19
	s_bitcmp0_b32 s2, 0
	s_mov_b32 s2, 0
	s_cbranch_scc1 .LBB3_2
; %bb.1:
	v_dual_mov_b32 v1, s4 :: v_dual_mov_b32 v2, s5
	v_dual_mov_b32 v4, s18 :: v_dual_mov_b32 v5, s19
	s_load_b64 s[4:5], s[0:1], 0x18
	flat_load_b64 v[2:3], v[1:2]
	flat_load_b64 v[7:8], v[4:5]
	s_waitcnt vmcnt(1) lgkmcnt(0)
	v_add_co_u32 v2, vcc_lo, v2, s4
	v_add_co_ci_u32_e32 v3, vcc_lo, s5, v3, vcc_lo
.LBB3_2:
	s_clause 0x1
	s_load_b32 s3, s[0:1], 0x15c
	s_load_b32 s4, s[0:1], 0x150
	s_waitcnt lgkmcnt(0)
	s_and_b32 s5, s3, 0xffff
	s_add_u32 s6, s16, -1
	s_mul_i32 s33, s4, s5
	s_addc_u32 s3, s17, -1
	s_lshl_b32 s56, s33, 1
	s_cmp_lg_u64 s[2:3], 0
	s_cbranch_scc0 .LBB3_49
; %bb.3:
	v_cvt_f32_ubyte0_e32 v1, 0
	v_cvt_f32_u32_e32 v4, s56
	s_sub_u32 s8, 0, s56
	s_subb_u32 s9, 0, 0
	s_delay_alu instid0(VALU_DEP_1) | instskip(NEXT) | instid1(VALU_DEP_1)
	v_fmamk_f32 v1, v1, 0x4f800000, v4
	v_rcp_f32_e32 v1, v1
	s_waitcnt_depctr 0xfff
	v_mul_f32_e32 v1, 0x5f7ffffc, v1
	s_delay_alu instid0(VALU_DEP_1) | instskip(NEXT) | instid1(VALU_DEP_1)
	v_mul_f32_e32 v4, 0x2f800000, v1
	v_trunc_f32_e32 v4, v4
	s_delay_alu instid0(VALU_DEP_1) | instskip(SKIP_1) | instid1(VALU_DEP_2)
	v_fmamk_f32 v1, v4, 0xcf800000, v1
	v_cvt_u32_f32_e32 v4, v4
	v_cvt_u32_f32_e32 v1, v1
	s_delay_alu instid0(VALU_DEP_2) | instskip(NEXT) | instid1(VALU_DEP_2)
	v_readfirstlane_b32 s2, v4
	v_readfirstlane_b32 s7, v1
	s_delay_alu instid0(VALU_DEP_2) | instskip(NEXT) | instid1(VALU_DEP_1)
	s_mul_i32 s10, s8, s2
	s_mul_hi_u32 s12, s8, s7
	s_mul_i32 s11, s9, s7
	s_add_i32 s10, s12, s10
	s_mul_i32 s13, s8, s7
	s_add_i32 s10, s10, s11
	s_mul_hi_u32 s12, s7, s13
	s_mul_hi_u32 s14, s2, s13
	s_mul_i32 s11, s2, s13
	s_mul_hi_u32 s13, s7, s10
	s_mul_i32 s7, s7, s10
	s_mul_hi_u32 s18, s2, s10
	s_add_u32 s7, s12, s7
	s_addc_u32 s12, 0, s13
	s_add_u32 s7, s7, s11
	s_mul_i32 s10, s2, s10
	s_addc_u32 s7, s12, s14
	s_addc_u32 s11, s18, 0
	s_add_u32 s7, s7, s10
	s_addc_u32 s10, 0, s11
	v_add_co_u32 v1, s7, v1, s7
	s_delay_alu instid0(VALU_DEP_1) | instskip(SKIP_1) | instid1(VALU_DEP_1)
	s_cmp_lg_u32 s7, 0
	s_addc_u32 s2, s2, s10
	v_readfirstlane_b32 s7, v1
	s_mul_i32 s10, s8, s2
	s_delay_alu instid0(VALU_DEP_1)
	s_mul_hi_u32 s11, s8, s7
	s_mul_i32 s9, s9, s7
	s_add_i32 s10, s11, s10
	s_mul_i32 s8, s8, s7
	s_add_i32 s10, s10, s9
	s_mul_hi_u32 s11, s2, s8
	s_mul_i32 s12, s2, s8
	s_mul_hi_u32 s8, s7, s8
	s_mul_hi_u32 s13, s7, s10
	s_mul_i32 s7, s7, s10
	s_mul_hi_u32 s9, s2, s10
	s_add_u32 s7, s8, s7
	s_addc_u32 s8, 0, s13
	s_add_u32 s7, s7, s12
	s_mul_i32 s10, s2, s10
	s_addc_u32 s7, s8, s11
	s_addc_u32 s8, s9, 0
	s_add_u32 s7, s7, s10
	s_addc_u32 s8, 0, s8
	v_add_co_u32 v1, s7, v1, s7
	s_delay_alu instid0(VALU_DEP_1) | instskip(SKIP_2) | instid1(VALU_DEP_1)
	s_cmp_lg_u32 s7, 0
	s_addc_u32 s7, s2, s8
	s_ashr_i32 s8, s3, 31
	v_readfirstlane_b32 s10, v1
	s_add_u32 s2, s6, s8
	s_mov_b32 s9, s8
	s_addc_u32 s3, s3, s8
	s_delay_alu instid0(SALU_CYCLE_1) | instskip(NEXT) | instid1(SALU_CYCLE_1)
	s_xor_b64 s[2:3], s[2:3], s[8:9]
	s_mul_i32 s12, s2, s7
	s_mul_hi_u32 s13, s2, s10
	s_mul_hi_u32 s11, s2, s7
	;; [unrolled: 1-line block ×3, first 2 shown]
	s_mul_i32 s10, s3, s10
	s_add_u32 s12, s13, s12
	s_addc_u32 s11, 0, s11
	s_mul_hi_u32 s14, s3, s7
	s_add_u32 s10, s12, s10
	s_mul_i32 s7, s3, s7
	s_addc_u32 s10, s11, s18
	s_addc_u32 s11, s14, 0
	s_add_u32 s7, s10, s7
	s_addc_u32 s10, 0, s11
	s_mul_i32 s12, s56, s7
	s_add_u32 s11, s7, 1
	v_sub_co_u32 v1, s2, s2, s12
	s_mul_hi_u32 s12, s56, s7
	s_addc_u32 s13, s10, 0
	s_mul_i32 s14, s56, s10
	s_delay_alu instid0(VALU_DEP_1)
	v_sub_co_u32 v4, s18, v1, s56
	s_add_u32 s19, s7, 2
	s_addc_u32 s20, s10, 0
	s_add_i32 s12, s12, s14
	s_cmp_lg_u32 s2, 0
	v_readfirstlane_b32 s2, v4
	s_subb_u32 s3, s3, s12
	s_cmp_lg_u32 s18, 0
	s_subb_u32 s12, s3, 0
	s_delay_alu instid0(VALU_DEP_1) | instskip(SKIP_4) | instid1(SALU_CYCLE_1)
	s_cmp_ge_u32 s2, s56
	s_cselect_b32 s2, -1, 0
	s_cmp_eq_u32 s12, 0
	v_readfirstlane_b32 s12, v1
	s_cselect_b32 s2, s2, -1
	s_cmp_lg_u32 s2, 0
	s_cselect_b32 s2, s19, s11
	s_cselect_b32 s11, s20, s13
	s_cmp_ge_u32 s12, s56
	s_cselect_b32 s12, -1, 0
	s_cmp_eq_u32 s3, 0
	s_cselect_b32 s3, s12, -1
	s_delay_alu instid0(SALU_CYCLE_1) | instskip(SKIP_2) | instid1(SALU_CYCLE_1)
	s_cmp_lg_u32 s3, 0
	s_cselect_b32 s3, s11, s10
	s_cselect_b32 s2, s2, s7
	s_xor_b64 s[2:3], s[2:3], s[8:9]
	s_delay_alu instid0(SALU_CYCLE_1)
	s_sub_u32 s2, s2, s8
	s_subb_u32 s3, s3, s8
	s_cbranch_execnz .LBB3_5
.LBB3_4:
	v_cvt_f32_u32_e32 v1, s56
	s_sub_i32 s3, 0, s56
	s_delay_alu instid0(VALU_DEP_1) | instskip(SKIP_2) | instid1(VALU_DEP_1)
	v_rcp_iflag_f32_e32 v1, v1
	s_waitcnt_depctr 0xfff
	v_mul_f32_e32 v1, 0x4f7ffffe, v1
	v_cvt_u32_f32_e32 v1, v1
	s_delay_alu instid0(VALU_DEP_1) | instskip(NEXT) | instid1(VALU_DEP_1)
	v_readfirstlane_b32 s2, v1
	s_mul_i32 s3, s3, s2
	s_delay_alu instid0(SALU_CYCLE_1) | instskip(NEXT) | instid1(SALU_CYCLE_1)
	s_mul_hi_u32 s3, s2, s3
	s_add_i32 s2, s2, s3
	s_delay_alu instid0(SALU_CYCLE_1) | instskip(NEXT) | instid1(SALU_CYCLE_1)
	s_mul_hi_u32 s2, s6, s2
	s_mul_i32 s3, s2, s56
	s_delay_alu instid0(SALU_CYCLE_1)
	s_sub_i32 s3, s6, s3
	s_add_i32 s6, s2, 1
	s_sub_i32 s7, s3, s56
	s_cmp_ge_u32 s3, s56
	s_cselect_b32 s2, s6, s2
	s_cselect_b32 s3, s7, s3
	s_add_i32 s6, s2, 1
	s_cmp_ge_u32 s3, s56
	s_mov_b32 s3, 0
	s_cselect_b32 s2, s6, s2
.LBB3_5:
	v_mov_b32_e32 v1, 0
	s_add_u32 s2, s2, 1
	s_addc_u32 s3, s3, 0
	s_mul_hi_u32 s6, s33, s2
	s_mul_i32 s3, s33, s3
	v_mad_u64_u32 v[9:10], null, s5, s15, v[0:1]
	s_mul_hi_u32 s4, s4, s5
	s_add_i32 s3, s6, s3
	s_mul_i32 s4, s4, s2
	s_mul_i32 s2, s33, s2
	s_add_i32 s3, s3, s4
	s_mov_b32 s4, exec_lo
	s_lshl_b64 s[2:3], s[2:3], 1
	s_delay_alu instid0(SALU_CYCLE_1)
	v_cmpx_gt_i64_e64 s[2:3], v[9:10]
	s_cbranch_execz .LBB3_48
; %bb.6:
	v_alignbit_b32 v13, v3, v2, 2
	v_mad_u64_u32 v[4:5], null, 0xcd9e8d57, v9, 0
	v_lshrrev_b32_e32 v14, 2, v3
	s_waitcnt vmcnt(0)
	v_dual_mov_b32 v33, v8 :: v_dual_and_b32 v16, 3, v2
	v_mad_u64_u32 v[0:1], null, 0xd2511f53, v13, 0
	v_add_co_u32 v17, null, 0x9e3779b9, v7
	v_xor3_b32 v3, v7, v5, v14
	s_delay_alu instid0(VALU_DEP_4) | instskip(SKIP_2) | instid1(VALU_DEP_4)
	v_add_co_u32 v15, null, 0xbb67ae85, v33
	v_add_co_u32 v20, null, 0x3c6ef372, v7
	v_xor_b32_e32 v1, v1, v8
	v_mad_u64_u32 v[5:6], null, 0xd2511f53, v3, 0
	v_add_co_u32 v21, null, 0x76cf5d0a, v33
	s_delay_alu instid0(VALU_DEP_3) | instskip(SKIP_2) | instid1(VALU_DEP_3)
	v_xor_b32_e32 v1, v1, v10
	v_add_co_u32 v24, null, 0x32370b8f, v33
	v_add_co_u32 v25, null, 0xdaa66d2b, v7
	v_mad_u64_u32 v[11:12], null, 0xcd9e8d57, v1, 0
	v_xor3_b32 v2, v15, v6, v0
	v_add_co_u32 v26, null, 0x78dde6e4, v7
	v_add_co_u32 v29, null, 0xed9eba14, v33
	s_delay_alu instid0(VALU_DEP_3) | instskip(SKIP_3) | instid1(VALU_DEP_3)
	v_mad_u64_u32 v[0:1], null, 0xcd9e8d57, v2, 0
	v_xor3_b32 v4, v17, v12, v4
	v_add_co_u32 v23, null, 0x1715609d, v7
	v_add_co_u32 v30, null, 0xa9066899, v33
	v_mad_u64_u32 v[2:3], null, 0xd2511f53, v4, 0
	v_xor3_b32 v1, v20, v1, v11
	v_add_co_u32 v27, null, 0xb54cda56, v7
	v_add_co_u32 v31, null, 0x646e171e, v33
	s_load_b256 s[4:11], s[0:1], 0x30
	s_delay_alu instid0(VALU_DEP_4) | instskip(SKIP_2) | instid1(VALU_DEP_3)
	v_xor3_b32 v11, v21, v3, v5
	v_mad_u64_u32 v[3:4], null, 0xd2511f53, v1, 0
	v_add_co_u32 v22, null, 0x5384540f, v7
	v_mad_u64_u32 v[5:6], null, 0xcd9e8d57, v11, 0
	v_add_co_u32 v32, null, 0x1fd5c5a3, v33
	s_delay_alu instid0(VALU_DEP_4) | instskip(SKIP_3) | instid1(VALU_DEP_4)
	v_xor3_b32 v2, v24, v4, v2
	v_add_co_u32 v28, null, 0xf1bbcdc8, v7
	v_add_co_u32 v33, null, 0xdb3d7428, v33
	v_xor3_b32 v4, v25, v6, v0
	v_mad_u64_u32 v[0:1], null, 0xcd9e8d57, v2, 0
	s_add_u32 s18, s0, 48
	s_load_b64 s[20:21], s[0:1], 0x148
	s_delay_alu instid0(VALU_DEP_2)
	v_mad_u64_u32 v[11:12], null, 0xd2511f53, v4, 0
	s_clause 0x1
	s_load_b64 s[22:23], s[0:1], 0xf4
	s_load_b128 s[12:15], s[0:1], 0x138
	s_addc_u32 s19, s1, 0
	v_xor3_b32 v4, v26, v1, v5
	s_waitcnt lgkmcnt(0)
	s_add_i32 s40, s4, -1
	v_dual_mov_b32 v35, v10 :: v_dual_add_nc_u32 v18, 0x8ff34781, v7
	v_xor3_b32 v5, v29, v12, v3
	v_mad_u64_u32 v[1:2], null, 0xd2511f53, v4, 0
	s_cmp_gt_u32 s40, 1
	v_mov_b32_e32 v34, v9
	s_delay_alu instid0(VALU_DEP_3) | instskip(SKIP_2) | instid1(VALU_DEP_3)
	v_mad_u64_u32 v[3:4], null, 0xcd9e8d57, v5, 0
	s_cselect_b32 s11, -1, 0
	s_cmp_lg_u32 s4, 0
	v_xor3_b32 v2, v30, v2, v11
	s_cselect_b32 s58, -1, 0
	s_add_u32 s38, s0, 0xf4
	s_addc_u32 s39, s1, 0
	s_delay_alu instid0(VALU_DEP_2) | instskip(SKIP_3) | instid1(VALU_DEP_2)
	v_xor3_b32 v0, v23, v4, v0
	v_mad_u64_u32 v[4:5], null, 0xcd9e8d57, v2, 0
	s_min_u32 s0, s40, 15
	s_cmp_gt_u32 s4, 1
	v_mad_u64_u32 v[11:12], null, 0xd2511f53, v0, 0
	s_cselect_b32 s4, -1, 0
	s_add_i32 s0, s0, 1
	s_delay_alu instid0(VALU_DEP_2) | instskip(SKIP_3) | instid1(VALU_DEP_2)
	v_xor3_b32 v2, v27, v5, v3
	s_and_b32 s59, s0, 3
	s_cmp_lg_u32 s40, 2
	s_mov_b32 s24, 0x652b82fe
	v_xor3_b32 v5, v31, v12, v1
	v_mad_u64_u32 v[0:1], null, 0xd2511f53, v2, 0
	s_cselect_b32 s60, -1, 0
	s_and_b32 s61, s0, 28
	s_delay_alu instid0(VALU_DEP_2) | instskip(SKIP_2) | instid1(VALU_DEP_2)
	v_mad_u64_u32 v[2:3], null, 0xcd9e8d57, v5, 0
	s_cmp_lg_u32 s59, 0
	s_mov_b32 s26, 0xfefa39ef
	v_xor3_b32 v1, v32, v1, v11
	s_mov_b32 s28, 0x3b39803f
	s_mov_b32 s30, 0xfca7ab0c
	;; [unrolled: 1-line block ×3, first 2 shown]
	s_delay_alu instid0(VALU_DEP_2) | instskip(SKIP_3) | instid1(VALU_DEP_2)
	v_xor3_b32 v5, v22, v3, v4
	v_mad_u64_u32 v[3:4], null, 0xcd9e8d57, v1, 0
	s_mov_b32 s36, 0x623fde64
	s_mov_b32 s40, 0x7c89e6b0
	v_mad_u64_u32 v[11:12], null, 0xd2511f53, v5, 0
	s_mov_b32 s42, 0x14761f6e
	s_mov_b32 s44, 0x1852b7b0
	s_delay_alu instid0(VALU_DEP_2) | instskip(SKIP_3) | instid1(VALU_DEP_2)
	v_xor3_b32 v2, v28, v4, v2
	s_mov_b32 s46, 0x11122322
	s_mov_b32 s48, 0x555502a1
	;; [unrolled: 1-line block ×3, first 2 shown]
	v_xor3_b32 v6, v33, v12, v0
	v_mad_u64_u32 v[0:1], null, 0xd2511f53, v2, 0
	v_add_nc_u32_e32 v19, 0x96a522ad, v8
	s_mov_b32 s52, 11
	s_delay_alu instid0(VALU_DEP_3) | instskip(SKIP_2) | instid1(VALU_DEP_3)
	v_mad_u64_u32 v[4:5], null, 0xcd9e8d57, v6, 0
	s_mov_b32 s57, 0
	s_mov_b32 s25, 0x3ff71547
	v_mov_b32_e32 v6, v0
	s_mov_b32 s27, 0xbfe62e42
	s_mov_b32 s29, 0xbc7abc9e
	;; [unrolled: 1-line block ×3, first 2 shown]
	s_delay_alu instid0(VALU_DEP_2)
	v_xor3_b32 v3, v5, v3, v18
	v_xor3_b32 v5, v1, v11, v19
	s_mov_b32 s35, 0x3e5ade15
	s_mov_b32 s37, 0x3ec71dee
	;; [unrolled: 1-line block ×9, first 2 shown]
	s_cselect_b32 s62, -1, 0
	s_branch .LBB3_9
.LBB3_7:                                ;   in Loop: Header=BB3_9 Depth=1
	v_mul_f32_e32 v4, 0.15915494, v6
	s_delay_alu instid0(VALU_DEP_1) | instskip(SKIP_2) | instid1(VALU_DEP_1)
	v_cos_f32_e32 v4, v4
	s_waitcnt_depctr 0xfff
	v_mul_f32_e32 v4, v4, v12
	v_cvt_f64_f32_e32 v[4:5], v4
	s_delay_alu instid0(VALU_DEP_1) | instskip(NEXT) | instid1(VALU_DEP_1)
	v_fma_f64 v[4:5], s[20:21], v[4:5], s[14:15]
	v_mul_f64 v[36:37], v[4:5], s[24:25]
	v_cmp_nlt_f64_e32 vcc_lo, 0x40900000, v[4:5]
	v_cmp_ngt_f64_e64 s0, 0xc090cc00, v[4:5]
	s_delay_alu instid0(VALU_DEP_3) | instskip(NEXT) | instid1(VALU_DEP_1)
	v_rndne_f64_e32 v[36:37], v[36:37]
	v_fma_f64 v[38:39], v[36:37], s[26:27], v[4:5]
	v_cvt_i32_f64_e32 v6, v[36:37]
	s_delay_alu instid0(VALU_DEP_2) | instskip(NEXT) | instid1(VALU_DEP_1)
	v_fma_f64 v[38:39], v[36:37], s[28:29], v[38:39]
	v_fma_f64 v[40:41], v[38:39], s[34:35], s[30:31]
	s_delay_alu instid0(VALU_DEP_1) | instskip(NEXT) | instid1(VALU_DEP_1)
	v_fma_f64 v[40:41], v[38:39], v[40:41], s[36:37]
	v_fma_f64 v[40:41], v[38:39], v[40:41], s[40:41]
	s_delay_alu instid0(VALU_DEP_1) | instskip(NEXT) | instid1(VALU_DEP_1)
	;; [unrolled: 3-line block ×5, first 2 shown]
	v_fma_f64 v[40:41], v[38:39], v[40:41], 1.0
	v_fma_f64 v[36:37], v[38:39], v[40:41], 1.0
	s_delay_alu instid0(VALU_DEP_1) | instskip(NEXT) | instid1(VALU_DEP_1)
	v_ldexp_f64 v[36:37], v[36:37], v6
	v_cndmask_b32_e32 v6, 0x7ff00000, v37, vcc_lo
	s_and_b32 vcc_lo, s0, vcc_lo
	s_delay_alu instid0(VALU_DEP_2) | instskip(NEXT) | instid1(VALU_DEP_2)
	v_cndmask_b32_e32 v4, 0, v36, vcc_lo
	v_cndmask_b32_e64 v5, 0, v6, s0
	global_store_b64 v3, v[4:5], s[12:13]
.LBB3_8:                                ;   in Loop: Header=BB3_9 Depth=1
	s_or_b32 exec_lo, exec_lo, s63
	v_add_co_u32 v9, vcc_lo, v9, s56
	v_add_co_ci_u32_e32 v10, vcc_lo, 0, v10, vcc_lo
	v_mov_b32_e32 v3, v11
	s_waitcnt_vscnt null, 0x0
	s_barrier
	s_delay_alu instid0(VALU_DEP_2)
	v_cmp_le_i64_e32 vcc_lo, s[2:3], v[9:10]
	buffer_gl0_inv
	v_mov_b32_e32 v6, v3
	v_dual_mov_b32 v5, v2 :: v_dual_mov_b32 v4, v1
	v_mov_b32_e32 v3, v0
	s_or_b32 s57, vcc_lo, s57
	s_delay_alu instid0(SALU_CYCLE_1)
	s_and_not1_b32 exec_lo, exec_lo, s57
	s_cbranch_execz .LBB3_48
.LBB3_9:                                ; =>This Loop Header: Depth=1
                                        ;     Child Loop BB3_24 Depth 2
                                        ;     Child Loop BB3_29 Depth 2
                                        ;     Child Loop BB3_39 Depth 2
                                        ;     Child Loop BB3_44 Depth 2
	v_add_co_u32 v13, vcc_lo, v13, 1
	s_delay_alu instid0(VALU_DEP_1) | instskip(SKIP_2) | instid1(VALU_DEP_1)
	v_cndmask_b32_e64 v0, 0, 1, vcc_lo
	v_add_co_ci_u32_e32 v14, vcc_lo, 0, v14, vcc_lo
	s_mov_b32 s0, exec_lo
	v_cmp_eq_u32_e32 vcc_lo, 0, v14
	s_delay_alu instid0(VALU_DEP_3) | instskip(NEXT) | instid1(VALU_DEP_1)
	v_cndmask_b32_e32 v0, 0, v0, vcc_lo
	v_add_nc_u32_e32 v34, v0, v34
	s_delay_alu instid0(VALU_DEP_1) | instskip(SKIP_2) | instid1(VALU_DEP_2)
	v_cmp_eq_u32_e32 vcc_lo, 0, v34
	v_mad_u64_u32 v[11:12], null, 0xcd9e8d57, v34, 0
	v_cndmask_b32_e32 v0, 0, v0, vcc_lo
	v_xor3_b32 v12, v12, v7, v14
	s_delay_alu instid0(VALU_DEP_2) | instskip(SKIP_1) | instid1(VALU_DEP_1)
	v_add_nc_u32_e32 v35, v0, v35
	v_mad_u64_u32 v[0:1], null, 0xd2511f53, v13, 0
	v_xor_b32_e32 v1, v1, v8
	s_delay_alu instid0(VALU_DEP_1) | instskip(NEXT) | instid1(VALU_DEP_1)
	v_xor_b32_e32 v36, v35, v1
	v_mad_u64_u32 v[1:2], null, 0xcd9e8d57, v36, 0
	v_mad_u64_u32 v[36:37], null, 0xd2511f53, v12, 0
	s_delay_alu instid0(VALU_DEP_2) | instskip(NEXT) | instid1(VALU_DEP_2)
	v_xor3_b32 v2, v17, v2, v11
	v_xor3_b32 v0, v15, v37, v0
	s_delay_alu instid0(VALU_DEP_2) | instskip(NEXT) | instid1(VALU_DEP_2)
	v_mad_u64_u32 v[11:12], null, 0xd2511f53, v2, 0
	v_mad_u64_u32 v[37:38], null, 0xcd9e8d57, v0, 0
	s_delay_alu instid0(VALU_DEP_2) | instskip(NEXT) | instid1(VALU_DEP_2)
	v_xor3_b32 v2, v21, v12, v36
	v_xor3_b32 v12, v20, v38, v1
	s_delay_alu instid0(VALU_DEP_2) | instskip(NEXT) | instid1(VALU_DEP_2)
	;; [unrolled: 6-line block ×8, first 2 shown]
	v_mad_u64_u32 v[1:2], null, 0xcd9e8d57, v0, 0
	v_mad_u64_u32 v[11:12], null, 0xd2511f53, v36, 0
	s_delay_alu instid0(VALU_DEP_2) | instskip(NEXT) | instid1(VALU_DEP_2)
	v_xor3_b32 v0, v2, v39, v18
	v_xor3_b32 v2, v12, v37, v19
	v_cmpx_lt_i32_e32 1, v16
	s_xor_b32 s0, exec_lo, s0
	s_cbranch_execz .LBB3_15
; %bb.10:                               ;   in Loop: Header=BB3_9 Depth=1
	s_mov_b32 s1, exec_lo
	v_cmpx_lt_i32_e32 2, v16
	s_xor_b32 s1, exec_lo, s1
; %bb.11:                               ;   in Loop: Header=BB3_9 Depth=1
	v_dual_mov_b32 v3, v6 :: v_dual_mov_b32 v4, v0
; %bb.12:                               ;   in Loop: Header=BB3_9 Depth=1
	s_and_not1_saveexec_b32 s1, s1
; %bb.13:                               ;   in Loop: Header=BB3_9 Depth=1
	v_dual_mov_b32 v3, v5 :: v_dual_mov_b32 v4, v6
; %bb.14:                               ;   in Loop: Header=BB3_9 Depth=1
	s_or_b32 exec_lo, exec_lo, s1
.LBB3_15:                               ;   in Loop: Header=BB3_9 Depth=1
	s_and_not1_saveexec_b32 s0, s0
	s_cbranch_execz .LBB3_19
; %bb.16:                               ;   in Loop: Header=BB3_9 Depth=1
	s_mov_b32 s1, exec_lo
	v_cmpx_eq_u32_e32 1, v16
; %bb.17:                               ;   in Loop: Header=BB3_9 Depth=1
	v_dual_mov_b32 v3, v4 :: v_dual_mov_b32 v4, v5
; %bb.18:                               ;   in Loop: Header=BB3_9 Depth=1
	s_or_b32 exec_lo, exec_lo, s1
.LBB3_19:                               ;   in Loop: Header=BB3_9 Depth=1
	s_delay_alu instid0(SALU_CYCLE_1) | instskip(NEXT) | instid1(VALU_DEP_1)
	s_or_b32 exec_lo, exec_lo, s0
	v_cvt_f32_u32_e32 v3, v3
	s_delay_alu instid0(VALU_DEP_2) | instskip(SKIP_1) | instid1(VALU_DEP_2)
	v_cvt_f32_u32_e32 v4, v4
	s_mov_b32 s63, exec_lo
	v_fmaak_f32 v3, 0x2f800000, v3, 0x2f800000
	s_delay_alu instid0(VALU_DEP_1) | instskip(SKIP_1) | instid1(VALU_DEP_1)
	v_cmp_gt_f32_e32 vcc_lo, 0x800000, v3
	v_cndmask_b32_e64 v5, 1.0, 0x4f800000, vcc_lo
	v_mul_f32_e32 v3, v3, v5
	s_delay_alu instid0(VALU_DEP_1) | instskip(SKIP_2) | instid1(VALU_DEP_1)
	v_log_f32_e32 v3, v3
	s_waitcnt_depctr 0xfff
	v_mul_f32_e32 v5, 0x3f317217, v3
	v_fma_f32 v6, 0x3f317217, v3, -v5
	s_delay_alu instid0(VALU_DEP_1) | instskip(NEXT) | instid1(VALU_DEP_1)
	v_fmac_f32_e32 v6, 0x3377d1cf, v3
	v_add_f32_e32 v5, v5, v6
	v_cndmask_b32_e64 v6, 0, 0x41b17218, vcc_lo
	v_cmp_gt_f32_e64 vcc_lo, 0x7f800000, |v3|
	s_delay_alu instid0(VALU_DEP_3) | instskip(NEXT) | instid1(VALU_DEP_1)
	v_cndmask_b32_e32 v3, v3, v5, vcc_lo
	v_sub_f32_e32 v3, v3, v6
	s_delay_alu instid0(VALU_DEP_1) | instskip(NEXT) | instid1(VALU_DEP_1)
	v_mul_f32_e32 v3, -2.0, v3
	v_mul_f32_e32 v5, 0x4f800000, v3
	v_cmp_gt_f32_e32 vcc_lo, 0xf800000, v3
	s_delay_alu instid0(VALU_DEP_2) | instskip(NEXT) | instid1(VALU_DEP_1)
	v_cndmask_b32_e32 v3, v3, v5, vcc_lo
	v_sqrt_f32_e32 v5, v3
	s_waitcnt_depctr 0xfff
	v_add_nc_u32_e32 v6, -1, v5
	v_add_nc_u32_e32 v12, 1, v5
	s_delay_alu instid0(VALU_DEP_2) | instskip(NEXT) | instid1(VALU_DEP_2)
	v_fma_f32 v36, -v6, v5, v3
	v_fma_f32 v37, -v12, v5, v3
	s_delay_alu instid0(VALU_DEP_2) | instskip(NEXT) | instid1(VALU_DEP_1)
	v_cmp_ge_f32_e64 s0, 0, v36
	v_cndmask_b32_e64 v5, v5, v6, s0
	s_delay_alu instid0(VALU_DEP_3) | instskip(NEXT) | instid1(VALU_DEP_1)
	v_cmp_lt_f32_e64 s0, 0, v37
	v_cndmask_b32_e64 v5, v5, v12, s0
	v_cmp_class_f32_e64 s0, v3, 0x260
	s_delay_alu instid0(VALU_DEP_2) | instskip(NEXT) | instid1(VALU_DEP_1)
	v_mul_f32_e32 v6, 0x37800000, v5
	v_dual_cndmask_b32 v5, v5, v6 :: v_dual_fmaak_f32 v6, 0x30c90fdb, v4, 0x30c90fdb
	s_delay_alu instid0(VALU_DEP_1)
	v_cndmask_b32_e64 v12, v5, v3, s0
	v_cmpx_gt_i64_e64 s[16:17], v[9:10]
	s_cbranch_execz .LBB3_34
; %bb.20:                               ;   in Loop: Header=BB3_9 Depth=1
	s_and_not1_b32 vcc_lo, exec_lo, s11
	s_cbranch_vccnz .LBB3_26
; %bb.21:                               ;   in Loop: Header=BB3_9 Depth=1
	v_mov_b32_e32 v3, 0
	s_and_not1_b32 vcc_lo, exec_lo, s58
	s_cbranch_vccnz .LBB3_30
; %bb.22:                               ;   in Loop: Header=BB3_9 Depth=1
	s_and_not1_b32 vcc_lo, exec_lo, s60
	s_mov_b32 s0, 0
	s_cbranch_vccnz .LBB3_27
; %bb.23:                               ;   in Loop: Header=BB3_9 Depth=1
	v_dual_mov_b32 v3, 0 :: v_dual_mov_b32 v4, v9
	s_mov_b32 s64, 0
	s_mov_b64 s[0:1], s[18:19]
	s_mov_b64 s[54:55], s[38:39]
.LBB3_24:                               ;   Parent Loop BB3_9 Depth=1
                                        ; =>  This Inner Loop Header: Depth=2
	s_clause 0x1
	s_load_b256 s[68:75], s[0:1], 0x4
	s_load_b128 s[76:79], s[0:1], 0x24
	s_load_b128 s[80:83], s[54:55], 0x0
	s_add_u32 s0, s0, 48
	s_addc_u32 s1, s1, 0
	s_add_i32 s64, s64, 4
	s_add_u32 s54, s54, 16
	s_addc_u32 s55, s55, 0
	s_cmp_lg_u32 s61, s64
	s_waitcnt lgkmcnt(0)
	v_mul_hi_u32 v5, s69, v4
	s_delay_alu instid0(VALU_DEP_1) | instskip(NEXT) | instid1(VALU_DEP_1)
	v_add_nc_u32_e32 v5, v4, v5
	v_lshrrev_b32_e32 v5, s70, v5
	s_delay_alu instid0(VALU_DEP_1) | instskip(SKIP_1) | instid1(VALU_DEP_2)
	v_mul_hi_u32 v36, s72, v5
	v_mul_lo_u32 v39, v5, s68
	v_add_nc_u32_e32 v36, v5, v36
	s_delay_alu instid0(VALU_DEP_2) | instskip(NEXT) | instid1(VALU_DEP_2)
	v_sub_nc_u32_e32 v39, v4, v39
	v_lshrrev_b32_e32 v36, s73, v36
	s_delay_alu instid0(VALU_DEP_2) | instskip(NEXT) | instid1(VALU_DEP_2)
	v_mul_lo_u32 v39, v39, s80
	v_mul_hi_u32 v37, s75, v36
	v_mul_lo_u32 v40, v36, s71
	s_delay_alu instid0(VALU_DEP_2) | instskip(NEXT) | instid1(VALU_DEP_2)
	v_add_nc_u32_e32 v37, v36, v37
	v_sub_nc_u32_e32 v5, v5, v40
	s_delay_alu instid0(VALU_DEP_2) | instskip(NEXT) | instid1(VALU_DEP_2)
	v_lshrrev_b32_e32 v37, s76, v37
	v_mul_lo_u32 v5, v5, s81
	s_delay_alu instid0(VALU_DEP_2) | instskip(NEXT) | instid1(VALU_DEP_2)
	v_mul_hi_u32 v38, s78, v37
	v_add3_u32 v3, v39, v3, v5
	s_delay_alu instid0(VALU_DEP_2) | instskip(NEXT) | instid1(VALU_DEP_1)
	v_add_nc_u32_e32 v38, v37, v38
	v_lshrrev_b32_e32 v4, s79, v38
	v_mul_lo_u32 v38, v37, s74
	s_delay_alu instid0(VALU_DEP_2) | instskip(NEXT) | instid1(VALU_DEP_2)
	v_mul_lo_u32 v41, v4, s77
	v_sub_nc_u32_e32 v36, v36, v38
	s_delay_alu instid0(VALU_DEP_2) | instskip(NEXT) | instid1(VALU_DEP_2)
	v_sub_nc_u32_e32 v37, v37, v41
	v_mul_lo_u32 v36, v36, s82
	s_delay_alu instid0(VALU_DEP_2) | instskip(NEXT) | instid1(VALU_DEP_1)
	v_mul_lo_u32 v37, v37, s83
	v_add3_u32 v3, v36, v3, v37
	s_cbranch_scc1 .LBB3_24
; %bb.25:                               ;   in Loop: Header=BB3_9 Depth=1
	s_mov_b32 s0, s61
	s_and_not1_b32 vcc_lo, exec_lo, s62
	s_cbranch_vccz .LBB3_28
	s_branch .LBB3_30
.LBB3_26:                               ;   in Loop: Header=BB3_9 Depth=1
                                        ; implicit-def: $vgpr3
	s_branch .LBB3_31
.LBB3_27:                               ;   in Loop: Header=BB3_9 Depth=1
	v_mov_b32_e32 v4, v9
	s_and_not1_b32 vcc_lo, exec_lo, s62
	s_cbranch_vccnz .LBB3_30
.LBB3_28:                               ;   in Loop: Header=BB3_9 Depth=1
	s_lshl_b32 s1, s0, 2
	s_mul_i32 s54, s0, 12
	s_add_u32 s0, s38, s1
	s_addc_u32 s1, s39, 0
	s_add_u32 s54, s18, s54
	s_addc_u32 s55, s19, 0
	s_mov_b32 s64, s59
	.p2align	6
.LBB3_29:                               ;   Parent Loop BB3_9 Depth=1
                                        ; =>  This Inner Loop Header: Depth=2
	s_clause 0x1
	s_load_b64 s[66:67], s[54:55], 0x4
	s_load_b32 s65, s[54:55], 0xc
	s_add_u32 s54, s54, 12
	s_addc_u32 s55, s55, 0
	s_waitcnt lgkmcnt(0)
	v_mul_hi_u32 v5, s67, v4
	s_load_b32 s67, s[0:1], 0x0
	s_add_u32 s0, s0, 4
	s_addc_u32 s1, s1, 0
	s_add_i32 s64, s64, -1
	s_delay_alu instid0(SALU_CYCLE_1) | instskip(NEXT) | instid1(VALU_DEP_1)
	s_cmp_lg_u32 s64, 0
	v_add_nc_u32_e32 v5, v4, v5
	s_delay_alu instid0(VALU_DEP_1) | instskip(NEXT) | instid1(VALU_DEP_1)
	v_lshrrev_b32_e32 v5, s65, v5
	v_mul_lo_u32 v36, v5, s66
	s_delay_alu instid0(VALU_DEP_1) | instskip(SKIP_1) | instid1(VALU_DEP_1)
	v_sub_nc_u32_e32 v4, v4, v36
	s_waitcnt lgkmcnt(0)
	v_mad_u64_u32 v[36:37], null, v4, s67, v[3:4]
	s_delay_alu instid0(VALU_DEP_1)
	v_dual_mov_b32 v4, v5 :: v_dual_mov_b32 v3, v36
	s_cbranch_scc1 .LBB3_29
.LBB3_30:                               ;   in Loop: Header=BB3_9 Depth=1
	s_cbranch_execnz .LBB3_33
.LBB3_31:                               ;   in Loop: Header=BB3_9 Depth=1
	v_mul_hi_u32 v3, v9, s6
	s_and_not1_b32 vcc_lo, exec_lo, s4
	s_delay_alu instid0(VALU_DEP_1) | instskip(NEXT) | instid1(VALU_DEP_1)
	v_add_nc_u32_e32 v3, v3, v9
	v_lshrrev_b32_e32 v4, s7, v3
	s_delay_alu instid0(VALU_DEP_1) | instskip(NEXT) | instid1(VALU_DEP_1)
	v_mul_lo_u32 v3, v4, s5
	v_sub_nc_u32_e32 v3, v9, v3
	s_delay_alu instid0(VALU_DEP_1)
	v_mul_lo_u32 v3, v3, s22
	s_cbranch_vccnz .LBB3_33
; %bb.32:                               ;   in Loop: Header=BB3_9 Depth=1
	v_mul_hi_u32 v5, s9, v4
	s_delay_alu instid0(VALU_DEP_1) | instskip(NEXT) | instid1(VALU_DEP_1)
	v_add_nc_u32_e32 v5, v4, v5
	v_lshrrev_b32_e32 v5, s10, v5
	s_delay_alu instid0(VALU_DEP_1) | instskip(NEXT) | instid1(VALU_DEP_1)
	v_mul_lo_u32 v5, v5, s8
	v_sub_nc_u32_e32 v36, v4, v5
	s_delay_alu instid0(VALU_DEP_1) | instskip(NEXT) | instid1(VALU_DEP_1)
	v_mad_u64_u32 v[4:5], null, v36, s23, v[3:4]
	v_mov_b32_e32 v3, v4
.LBB3_33:                               ;   in Loop: Header=BB3_9 Depth=1
	v_mul_f32_e32 v4, 0.15915494, v6
	s_delay_alu instid0(VALU_DEP_1) | instskip(SKIP_2) | instid1(VALU_DEP_1)
	v_sin_f32_e32 v4, v4
	s_waitcnt_depctr 0xfff
	v_mul_f32_e32 v4, v4, v12
	v_cvt_f64_f32_e32 v[4:5], v4
	s_delay_alu instid0(VALU_DEP_1) | instskip(NEXT) | instid1(VALU_DEP_1)
	v_fma_f64 v[4:5], s[20:21], v[4:5], s[14:15]
	v_mul_f64 v[36:37], v[4:5], s[24:25]
	v_cmp_nlt_f64_e32 vcc_lo, 0x40900000, v[4:5]
	v_cmp_ngt_f64_e64 s0, 0xc090cc00, v[4:5]
	s_delay_alu instid0(VALU_DEP_3) | instskip(NEXT) | instid1(VALU_DEP_1)
	v_rndne_f64_e32 v[36:37], v[36:37]
	v_fma_f64 v[38:39], v[36:37], s[26:27], v[4:5]
	v_cvt_i32_f64_e32 v42, v[36:37]
	s_delay_alu instid0(VALU_DEP_2) | instskip(NEXT) | instid1(VALU_DEP_1)
	v_fma_f64 v[38:39], v[36:37], s[28:29], v[38:39]
	v_fma_f64 v[40:41], v[38:39], s[34:35], s[30:31]
	s_delay_alu instid0(VALU_DEP_1) | instskip(NEXT) | instid1(VALU_DEP_1)
	v_fma_f64 v[40:41], v[38:39], v[40:41], s[36:37]
	v_fma_f64 v[40:41], v[38:39], v[40:41], s[40:41]
	s_delay_alu instid0(VALU_DEP_1) | instskip(NEXT) | instid1(VALU_DEP_1)
	;; [unrolled: 3-line block ×5, first 2 shown]
	v_fma_f64 v[40:41], v[38:39], v[40:41], 1.0
	v_fma_f64 v[36:37], v[38:39], v[40:41], 1.0
	s_delay_alu instid0(VALU_DEP_1) | instskip(NEXT) | instid1(VALU_DEP_1)
	v_ldexp_f64 v[36:37], v[36:37], v42
	v_cndmask_b32_e32 v37, 0x7ff00000, v37, vcc_lo
	s_and_b32 vcc_lo, s0, vcc_lo
	s_delay_alu instid0(VALU_DEP_2) | instskip(NEXT) | instid1(VALU_DEP_2)
	v_cndmask_b32_e32 v4, 0, v36, vcc_lo
	v_cndmask_b32_e64 v5, 0, v37, s0
	global_store_b64 v3, v[4:5], s[12:13]
.LBB3_34:                               ;   in Loop: Header=BB3_9 Depth=1
	s_or_b32 exec_lo, exec_lo, s63
	v_add_co_u32 v4, vcc_lo, v9, s33
	v_add_co_ci_u32_e32 v5, vcc_lo, 0, v10, vcc_lo
	s_mov_b32 s63, exec_lo
	s_delay_alu instid0(VALU_DEP_1)
	v_cmpx_gt_i64_e64 s[16:17], v[4:5]
	s_cbranch_execz .LBB3_8
; %bb.35:                               ;   in Loop: Header=BB3_9 Depth=1
	s_and_not1_b32 vcc_lo, exec_lo, s11
	s_cbranch_vccnz .LBB3_41
; %bb.36:                               ;   in Loop: Header=BB3_9 Depth=1
	v_mov_b32_e32 v3, 0
	s_and_not1_b32 vcc_lo, exec_lo, s58
	s_cbranch_vccnz .LBB3_45
; %bb.37:                               ;   in Loop: Header=BB3_9 Depth=1
	s_and_not1_b32 vcc_lo, exec_lo, s60
	s_mov_b32 s0, 0
	s_cbranch_vccnz .LBB3_42
; %bb.38:                               ;   in Loop: Header=BB3_9 Depth=1
	v_mov_b32_e32 v3, 0
	v_mov_b32_e32 v5, v4
	s_mov_b32 s64, 0
	s_mov_b64 s[0:1], s[18:19]
	s_mov_b64 s[54:55], s[38:39]
.LBB3_39:                               ;   Parent Loop BB3_9 Depth=1
                                        ; =>  This Inner Loop Header: Depth=2
	s_clause 0x1
	s_load_b256 s[68:75], s[0:1], 0x4
	s_load_b128 s[76:79], s[0:1], 0x24
	s_load_b128 s[80:83], s[54:55], 0x0
	s_add_u32 s0, s0, 48
	s_addc_u32 s1, s1, 0
	s_add_i32 s64, s64, 4
	s_add_u32 s54, s54, 16
	s_addc_u32 s55, s55, 0
	s_cmp_eq_u32 s61, s64
	s_waitcnt lgkmcnt(0)
	v_mul_hi_u32 v36, s69, v5
	s_delay_alu instid0(VALU_DEP_1) | instskip(NEXT) | instid1(VALU_DEP_1)
	v_add_nc_u32_e32 v36, v5, v36
	v_lshrrev_b32_e32 v36, s70, v36
	s_delay_alu instid0(VALU_DEP_1) | instskip(SKIP_1) | instid1(VALU_DEP_2)
	v_mul_hi_u32 v37, s72, v36
	v_mul_lo_u32 v40, v36, s68
	v_add_nc_u32_e32 v37, v36, v37
	s_delay_alu instid0(VALU_DEP_2) | instskip(NEXT) | instid1(VALU_DEP_2)
	v_sub_nc_u32_e32 v40, v5, v40
	v_lshrrev_b32_e32 v37, s73, v37
	s_delay_alu instid0(VALU_DEP_2) | instskip(NEXT) | instid1(VALU_DEP_2)
	v_mul_lo_u32 v40, v40, s80
	v_mul_hi_u32 v38, s75, v37
	v_mul_lo_u32 v41, v37, s71
	s_delay_alu instid0(VALU_DEP_2) | instskip(NEXT) | instid1(VALU_DEP_2)
	v_add_nc_u32_e32 v38, v37, v38
	v_sub_nc_u32_e32 v36, v36, v41
	s_delay_alu instid0(VALU_DEP_2) | instskip(NEXT) | instid1(VALU_DEP_2)
	v_lshrrev_b32_e32 v38, s76, v38
	v_mul_lo_u32 v36, v36, s81
	s_delay_alu instid0(VALU_DEP_2) | instskip(NEXT) | instid1(VALU_DEP_2)
	v_mul_hi_u32 v39, s78, v38
	v_add3_u32 v3, v40, v3, v36
	s_delay_alu instid0(VALU_DEP_2) | instskip(NEXT) | instid1(VALU_DEP_1)
	v_add_nc_u32_e32 v39, v38, v39
	v_lshrrev_b32_e32 v5, s79, v39
	v_mul_lo_u32 v39, v38, s74
	s_delay_alu instid0(VALU_DEP_2) | instskip(NEXT) | instid1(VALU_DEP_2)
	v_mul_lo_u32 v42, v5, s77
	v_sub_nc_u32_e32 v37, v37, v39
	s_delay_alu instid0(VALU_DEP_2) | instskip(NEXT) | instid1(VALU_DEP_2)
	v_sub_nc_u32_e32 v38, v38, v42
	v_mul_lo_u32 v37, v37, s82
	s_delay_alu instid0(VALU_DEP_2) | instskip(NEXT) | instid1(VALU_DEP_1)
	v_mul_lo_u32 v38, v38, s83
	v_add3_u32 v3, v37, v3, v38
	s_cbranch_scc0 .LBB3_39
; %bb.40:                               ;   in Loop: Header=BB3_9 Depth=1
	s_mov_b32 s0, s61
	s_and_not1_b32 vcc_lo, exec_lo, s62
	s_cbranch_vccz .LBB3_43
	s_branch .LBB3_45
.LBB3_41:                               ;   in Loop: Header=BB3_9 Depth=1
                                        ; implicit-def: $vgpr3
	s_branch .LBB3_46
.LBB3_42:                               ;   in Loop: Header=BB3_9 Depth=1
	v_mov_b32_e32 v5, v4
	s_and_not1_b32 vcc_lo, exec_lo, s62
	s_cbranch_vccnz .LBB3_45
.LBB3_43:                               ;   in Loop: Header=BB3_9 Depth=1
	s_lshl_b32 s1, s0, 2
	s_mul_i32 s54, s0, 12
	s_add_u32 s0, s38, s1
	s_addc_u32 s1, s39, 0
	s_add_u32 s54, s18, s54
	s_addc_u32 s55, s19, 0
	s_mov_b32 s64, s59
	.p2align	6
.LBB3_44:                               ;   Parent Loop BB3_9 Depth=1
                                        ; =>  This Inner Loop Header: Depth=2
	s_clause 0x1
	s_load_b64 s[66:67], s[54:55], 0x4
	s_load_b32 s65, s[54:55], 0xc
	s_add_u32 s54, s54, 12
	s_addc_u32 s55, s55, 0
	s_waitcnt lgkmcnt(0)
	v_mul_hi_u32 v36, s67, v5
	s_load_b32 s67, s[0:1], 0x0
	s_add_u32 s0, s0, 4
	s_addc_u32 s1, s1, 0
	s_add_i32 s64, s64, -1
	s_delay_alu instid0(SALU_CYCLE_1) | instskip(NEXT) | instid1(VALU_DEP_1)
	s_cmp_lg_u32 s64, 0
	v_add_nc_u32_e32 v36, v5, v36
	s_delay_alu instid0(VALU_DEP_1) | instskip(NEXT) | instid1(VALU_DEP_1)
	v_lshrrev_b32_e32 v38, s65, v36
	v_mul_lo_u32 v36, v38, s66
	s_delay_alu instid0(VALU_DEP_1) | instskip(SKIP_1) | instid1(VALU_DEP_1)
	v_sub_nc_u32_e32 v5, v5, v36
	s_waitcnt lgkmcnt(0)
	v_mad_u64_u32 v[36:37], null, v5, s67, v[3:4]
	v_mov_b32_e32 v5, v38
	s_delay_alu instid0(VALU_DEP_2)
	v_mov_b32_e32 v3, v36
	s_cbranch_scc1 .LBB3_44
.LBB3_45:                               ;   in Loop: Header=BB3_9 Depth=1
	s_cbranch_execnz .LBB3_7
.LBB3_46:                               ;   in Loop: Header=BB3_9 Depth=1
	v_mul_hi_u32 v3, v4, s6
	s_and_not1_b32 vcc_lo, exec_lo, s4
	s_delay_alu instid0(VALU_DEP_1) | instskip(NEXT) | instid1(VALU_DEP_1)
	v_add_nc_u32_e32 v3, v3, v4
	v_lshrrev_b32_e32 v5, s7, v3
	s_delay_alu instid0(VALU_DEP_1) | instskip(NEXT) | instid1(VALU_DEP_1)
	v_mul_lo_u32 v3, v5, s5
	v_sub_nc_u32_e32 v3, v4, v3
	s_delay_alu instid0(VALU_DEP_1)
	v_mul_lo_u32 v3, v3, s22
	s_cbranch_vccnz .LBB3_7
; %bb.47:                               ;   in Loop: Header=BB3_9 Depth=1
	v_mul_hi_u32 v4, s9, v5
	s_delay_alu instid0(VALU_DEP_1) | instskip(NEXT) | instid1(VALU_DEP_1)
	v_add_nc_u32_e32 v4, v5, v4
	v_lshrrev_b32_e32 v4, s10, v4
	s_delay_alu instid0(VALU_DEP_1) | instskip(NEXT) | instid1(VALU_DEP_1)
	v_mul_lo_u32 v4, v4, s8
	v_sub_nc_u32_e32 v36, v5, v4
	s_delay_alu instid0(VALU_DEP_1) | instskip(NEXT) | instid1(VALU_DEP_1)
	v_mad_u64_u32 v[4:5], null, v36, s23, v[3:4]
	v_mov_b32_e32 v3, v4
	s_branch .LBB3_7
.LBB3_48:
	s_endpgm
.LBB3_49:
                                        ; implicit-def: $sgpr2_sgpr3
	s_branch .LBB3_4
	.section	.rodata,"a",@progbits
	.p2align	6, 0x0
	.amdhsa_kernel _ZN2at6native12_GLOBAL__N_143distribution_elementwise_grid_stride_kernelIdLi2EZNS0_9templates4cuda20normal_and_transformIddPNS_17CUDAGeneratorImplEZZZNS4_17log_normal_kernelIS7_EEvRNS_18TensorIteratorBaseEddT_ENKUlvE_clEvENKUlvE_clEvEUldE_EEvSA_T1_T2_EUlP25hiprandStatePhilox4_32_10E0_ZNS1_27distribution_nullary_kernelIdd15HIP_vector_typeIfLj4EES7_SJ_SE_EEvSA_SG_RKT3_T4_EUlidE0_EEvlNS_15PhiloxCudaStateESF_SG_
		.amdhsa_group_segment_fixed_size 0
		.amdhsa_private_segment_fixed_size 0
		.amdhsa_kernarg_size 592
		.amdhsa_user_sgpr_count 15
		.amdhsa_user_sgpr_dispatch_ptr 0
		.amdhsa_user_sgpr_queue_ptr 0
		.amdhsa_user_sgpr_kernarg_segment_ptr 1
		.amdhsa_user_sgpr_dispatch_id 0
		.amdhsa_user_sgpr_private_segment_size 0
		.amdhsa_wavefront_size32 1
		.amdhsa_uses_dynamic_stack 0
		.amdhsa_enable_private_segment 0
		.amdhsa_system_sgpr_workgroup_id_x 1
		.amdhsa_system_sgpr_workgroup_id_y 0
		.amdhsa_system_sgpr_workgroup_id_z 0
		.amdhsa_system_sgpr_workgroup_info 0
		.amdhsa_system_vgpr_workitem_id 0
		.amdhsa_next_free_vgpr 43
		.amdhsa_next_free_sgpr 84
		.amdhsa_reserve_vcc 1
		.amdhsa_float_round_mode_32 0
		.amdhsa_float_round_mode_16_64 0
		.amdhsa_float_denorm_mode_32 3
		.amdhsa_float_denorm_mode_16_64 3
		.amdhsa_dx10_clamp 1
		.amdhsa_ieee_mode 1
		.amdhsa_fp16_overflow 0
		.amdhsa_workgroup_processor_mode 1
		.amdhsa_memory_ordered 1
		.amdhsa_forward_progress 0
		.amdhsa_shared_vgpr_count 0
		.amdhsa_exception_fp_ieee_invalid_op 0
		.amdhsa_exception_fp_denorm_src 0
		.amdhsa_exception_fp_ieee_div_zero 0
		.amdhsa_exception_fp_ieee_overflow 0
		.amdhsa_exception_fp_ieee_underflow 0
		.amdhsa_exception_fp_ieee_inexact 0
		.amdhsa_exception_int_div_zero 0
	.end_amdhsa_kernel
	.section	.text._ZN2at6native12_GLOBAL__N_143distribution_elementwise_grid_stride_kernelIdLi2EZNS0_9templates4cuda20normal_and_transformIddPNS_17CUDAGeneratorImplEZZZNS4_17log_normal_kernelIS7_EEvRNS_18TensorIteratorBaseEddT_ENKUlvE_clEvENKUlvE_clEvEUldE_EEvSA_T1_T2_EUlP25hiprandStatePhilox4_32_10E0_ZNS1_27distribution_nullary_kernelIdd15HIP_vector_typeIfLj4EES7_SJ_SE_EEvSA_SG_RKT3_T4_EUlidE0_EEvlNS_15PhiloxCudaStateESF_SG_,"axG",@progbits,_ZN2at6native12_GLOBAL__N_143distribution_elementwise_grid_stride_kernelIdLi2EZNS0_9templates4cuda20normal_and_transformIddPNS_17CUDAGeneratorImplEZZZNS4_17log_normal_kernelIS7_EEvRNS_18TensorIteratorBaseEddT_ENKUlvE_clEvENKUlvE_clEvEUldE_EEvSA_T1_T2_EUlP25hiprandStatePhilox4_32_10E0_ZNS1_27distribution_nullary_kernelIdd15HIP_vector_typeIfLj4EES7_SJ_SE_EEvSA_SG_RKT3_T4_EUlidE0_EEvlNS_15PhiloxCudaStateESF_SG_,comdat
.Lfunc_end3:
	.size	_ZN2at6native12_GLOBAL__N_143distribution_elementwise_grid_stride_kernelIdLi2EZNS0_9templates4cuda20normal_and_transformIddPNS_17CUDAGeneratorImplEZZZNS4_17log_normal_kernelIS7_EEvRNS_18TensorIteratorBaseEddT_ENKUlvE_clEvENKUlvE_clEvEUldE_EEvSA_T1_T2_EUlP25hiprandStatePhilox4_32_10E0_ZNS1_27distribution_nullary_kernelIdd15HIP_vector_typeIfLj4EES7_SJ_SE_EEvSA_SG_RKT3_T4_EUlidE0_EEvlNS_15PhiloxCudaStateESF_SG_, .Lfunc_end3-_ZN2at6native12_GLOBAL__N_143distribution_elementwise_grid_stride_kernelIdLi2EZNS0_9templates4cuda20normal_and_transformIddPNS_17CUDAGeneratorImplEZZZNS4_17log_normal_kernelIS7_EEvRNS_18TensorIteratorBaseEddT_ENKUlvE_clEvENKUlvE_clEvEUldE_EEvSA_T1_T2_EUlP25hiprandStatePhilox4_32_10E0_ZNS1_27distribution_nullary_kernelIdd15HIP_vector_typeIfLj4EES7_SJ_SE_EEvSA_SG_RKT3_T4_EUlidE0_EEvlNS_15PhiloxCudaStateESF_SG_
                                        ; -- End function
	.section	.AMDGPU.csdata,"",@progbits
; Kernel info:
; codeLenInByte = 4712
; NumSgprs: 86
; NumVgprs: 43
; ScratchSize: 0
; MemoryBound: 0
; FloatMode: 240
; IeeeMode: 1
; LDSByteSize: 0 bytes/workgroup (compile time only)
; SGPRBlocks: 10
; VGPRBlocks: 5
; NumSGPRsForWavesPerEU: 86
; NumVGPRsForWavesPerEU: 43
; Occupancy: 16
; WaveLimiterHint : 1
; COMPUTE_PGM_RSRC2:SCRATCH_EN: 0
; COMPUTE_PGM_RSRC2:USER_SGPR: 15
; COMPUTE_PGM_RSRC2:TRAP_HANDLER: 0
; COMPUTE_PGM_RSRC2:TGID_X_EN: 1
; COMPUTE_PGM_RSRC2:TGID_Y_EN: 0
; COMPUTE_PGM_RSRC2:TGID_Z_EN: 0
; COMPUTE_PGM_RSRC2:TIDIG_COMP_CNT: 0
	.section	.text._ZN2at6native12_GLOBAL__N_143distribution_elementwise_grid_stride_kernelIfLi4EZNS0_9templates4cuda20normal_and_transformIffPNS_17CUDAGeneratorImplEZZZNS4_17log_normal_kernelIS7_EEvRNS_18TensorIteratorBaseEddT_ENKUlvE_clEvENKUlvE0_clEvEUlfE_EEvSA_T1_T2_EUlP25hiprandStatePhilox4_32_10E_ZNS1_27distribution_nullary_kernelIff15HIP_vector_typeIdLj2EES7_SJ_SE_EEvSA_SG_RKT3_T4_EUlifE_EEvlNS_15PhiloxCudaStateESF_SG_,"axG",@progbits,_ZN2at6native12_GLOBAL__N_143distribution_elementwise_grid_stride_kernelIfLi4EZNS0_9templates4cuda20normal_and_transformIffPNS_17CUDAGeneratorImplEZZZNS4_17log_normal_kernelIS7_EEvRNS_18TensorIteratorBaseEddT_ENKUlvE_clEvENKUlvE0_clEvEUlfE_EEvSA_T1_T2_EUlP25hiprandStatePhilox4_32_10E_ZNS1_27distribution_nullary_kernelIff15HIP_vector_typeIdLj2EES7_SJ_SE_EEvSA_SG_RKT3_T4_EUlifE_EEvlNS_15PhiloxCudaStateESF_SG_,comdat
	.globl	_ZN2at6native12_GLOBAL__N_143distribution_elementwise_grid_stride_kernelIfLi4EZNS0_9templates4cuda20normal_and_transformIffPNS_17CUDAGeneratorImplEZZZNS4_17log_normal_kernelIS7_EEvRNS_18TensorIteratorBaseEddT_ENKUlvE_clEvENKUlvE0_clEvEUlfE_EEvSA_T1_T2_EUlP25hiprandStatePhilox4_32_10E_ZNS1_27distribution_nullary_kernelIff15HIP_vector_typeIdLj2EES7_SJ_SE_EEvSA_SG_RKT3_T4_EUlifE_EEvlNS_15PhiloxCudaStateESF_SG_ ; -- Begin function _ZN2at6native12_GLOBAL__N_143distribution_elementwise_grid_stride_kernelIfLi4EZNS0_9templates4cuda20normal_and_transformIffPNS_17CUDAGeneratorImplEZZZNS4_17log_normal_kernelIS7_EEvRNS_18TensorIteratorBaseEddT_ENKUlvE_clEvENKUlvE0_clEvEUlfE_EEvSA_T1_T2_EUlP25hiprandStatePhilox4_32_10E_ZNS1_27distribution_nullary_kernelIff15HIP_vector_typeIdLj2EES7_SJ_SE_EEvSA_SG_RKT3_T4_EUlifE_EEvlNS_15PhiloxCudaStateESF_SG_
	.p2align	8
	.type	_ZN2at6native12_GLOBAL__N_143distribution_elementwise_grid_stride_kernelIfLi4EZNS0_9templates4cuda20normal_and_transformIffPNS_17CUDAGeneratorImplEZZZNS4_17log_normal_kernelIS7_EEvRNS_18TensorIteratorBaseEddT_ENKUlvE_clEvENKUlvE0_clEvEUlfE_EEvSA_T1_T2_EUlP25hiprandStatePhilox4_32_10E_ZNS1_27distribution_nullary_kernelIff15HIP_vector_typeIdLj2EES7_SJ_SE_EEvSA_SG_RKT3_T4_EUlifE_EEvlNS_15PhiloxCudaStateESF_SG_,@function
_ZN2at6native12_GLOBAL__N_143distribution_elementwise_grid_stride_kernelIfLi4EZNS0_9templates4cuda20normal_and_transformIffPNS_17CUDAGeneratorImplEZZZNS4_17log_normal_kernelIS7_EEvRNS_18TensorIteratorBaseEddT_ENKUlvE_clEvENKUlvE0_clEvEUlfE_EEvSA_T1_T2_EUlP25hiprandStatePhilox4_32_10E_ZNS1_27distribution_nullary_kernelIff15HIP_vector_typeIdLj2EES7_SJ_SE_EEvSA_SG_RKT3_T4_EUlifE_EEvlNS_15PhiloxCudaStateESF_SG_: ; @_ZN2at6native12_GLOBAL__N_143distribution_elementwise_grid_stride_kernelIfLi4EZNS0_9templates4cuda20normal_and_transformIffPNS_17CUDAGeneratorImplEZZZNS4_17log_normal_kernelIS7_EEvRNS_18TensorIteratorBaseEddT_ENKUlvE_clEvENKUlvE0_clEvEUlfE_EEvSA_T1_T2_EUlP25hiprandStatePhilox4_32_10E_ZNS1_27distribution_nullary_kernelIff15HIP_vector_typeIdLj2EES7_SJ_SE_EEvSA_SG_RKT3_T4_EUlifE_EEvlNS_15PhiloxCudaStateESF_SG_
; %bb.0:
	s_clause 0x2
	s_load_b64 s[8:9], s[0:1], 0x10
	s_load_b128 s[4:7], s[0:1], 0x0
	s_load_b32 s2, s[0:1], 0x20
	s_waitcnt lgkmcnt(0)
	v_dual_mov_b32 v2, s8 :: v_dual_mov_b32 v3, s9
	v_dual_mov_b32 v11, s7 :: v_dual_mov_b32 v10, s6
	s_bitcmp0_b32 s2, 0
	s_mov_b32 s2, 0
	s_cbranch_scc1 .LBB4_2
; %bb.1:
	v_dual_mov_b32 v1, s8 :: v_dual_mov_b32 v2, s9
	v_dual_mov_b32 v4, s6 :: v_dual_mov_b32 v5, s7
	s_load_b64 s[6:7], s[0:1], 0x18
	flat_load_b64 v[2:3], v[1:2]
	flat_load_b64 v[10:11], v[4:5]
	s_waitcnt vmcnt(1) lgkmcnt(0)
	v_add_co_u32 v2, vcc_lo, v2, s6
	v_add_co_ci_u32_e32 v3, vcc_lo, s7, v3, vcc_lo
.LBB4_2:
	s_clause 0x1
	s_load_b32 s3, s[0:1], 0x54
	s_load_b32 s16, s[0:1], 0x48
	s_waitcnt lgkmcnt(0)
	s_and_b32 s14, s3, 0xffff
	s_add_u32 s6, s4, -1
	s_mul_i32 s33, s16, s14
	s_addc_u32 s3, s5, -1
	s_lshl_b32 s62, s33, 2
	s_cmp_lg_u64 s[2:3], 0
	s_cbranch_scc0 .LBB4_27
; %bb.3:
	v_cvt_f32_ubyte0_e32 v1, 0
	v_cvt_f32_u32_e32 v4, s62
	s_sub_u32 s8, 0, s62
	s_subb_u32 s9, 0, 0
	s_delay_alu instid0(VALU_DEP_1) | instskip(NEXT) | instid1(VALU_DEP_1)
	v_fmamk_f32 v1, v1, 0x4f800000, v4
	v_rcp_f32_e32 v1, v1
	s_waitcnt_depctr 0xfff
	v_mul_f32_e32 v1, 0x5f7ffffc, v1
	s_delay_alu instid0(VALU_DEP_1) | instskip(NEXT) | instid1(VALU_DEP_1)
	v_mul_f32_e32 v4, 0x2f800000, v1
	v_trunc_f32_e32 v4, v4
	s_delay_alu instid0(VALU_DEP_1) | instskip(SKIP_1) | instid1(VALU_DEP_2)
	v_fmamk_f32 v1, v4, 0xcf800000, v1
	v_cvt_u32_f32_e32 v4, v4
	v_cvt_u32_f32_e32 v1, v1
	s_delay_alu instid0(VALU_DEP_2) | instskip(NEXT) | instid1(VALU_DEP_2)
	v_readfirstlane_b32 s2, v4
	v_readfirstlane_b32 s7, v1
	s_delay_alu instid0(VALU_DEP_2) | instskip(NEXT) | instid1(VALU_DEP_1)
	s_mul_i32 s10, s8, s2
	s_mul_hi_u32 s12, s8, s7
	s_mul_i32 s11, s9, s7
	s_add_i32 s10, s12, s10
	s_mul_i32 s13, s8, s7
	s_add_i32 s10, s10, s11
	s_mul_hi_u32 s12, s7, s13
	s_mul_hi_u32 s17, s2, s13
	s_mul_i32 s11, s2, s13
	s_mul_hi_u32 s13, s7, s10
	s_mul_i32 s7, s7, s10
	s_mul_hi_u32 s18, s2, s10
	s_add_u32 s7, s12, s7
	s_addc_u32 s12, 0, s13
	s_add_u32 s7, s7, s11
	s_mul_i32 s10, s2, s10
	s_addc_u32 s7, s12, s17
	s_addc_u32 s11, s18, 0
	s_add_u32 s7, s7, s10
	s_addc_u32 s10, 0, s11
	v_add_co_u32 v1, s7, v1, s7
	s_delay_alu instid0(VALU_DEP_1) | instskip(SKIP_1) | instid1(VALU_DEP_1)
	s_cmp_lg_u32 s7, 0
	s_addc_u32 s2, s2, s10
	v_readfirstlane_b32 s7, v1
	s_mul_i32 s10, s8, s2
	s_delay_alu instid0(VALU_DEP_1)
	s_mul_hi_u32 s11, s8, s7
	s_mul_i32 s9, s9, s7
	s_add_i32 s10, s11, s10
	s_mul_i32 s8, s8, s7
	s_add_i32 s10, s10, s9
	s_mul_hi_u32 s11, s2, s8
	s_mul_i32 s12, s2, s8
	s_mul_hi_u32 s8, s7, s8
	s_mul_hi_u32 s13, s7, s10
	s_mul_i32 s7, s7, s10
	s_mul_hi_u32 s9, s2, s10
	s_add_u32 s7, s8, s7
	s_addc_u32 s8, 0, s13
	s_add_u32 s7, s7, s12
	s_mul_i32 s10, s2, s10
	s_addc_u32 s7, s8, s11
	s_addc_u32 s8, s9, 0
	s_add_u32 s7, s7, s10
	s_addc_u32 s8, 0, s8
	v_add_co_u32 v1, s7, v1, s7
	s_delay_alu instid0(VALU_DEP_1) | instskip(SKIP_2) | instid1(VALU_DEP_1)
	s_cmp_lg_u32 s7, 0
	s_addc_u32 s7, s2, s8
	s_ashr_i32 s8, s3, 31
	v_readfirstlane_b32 s10, v1
	s_add_u32 s2, s6, s8
	s_mov_b32 s9, s8
	s_addc_u32 s3, s3, s8
	s_delay_alu instid0(SALU_CYCLE_1) | instskip(NEXT) | instid1(SALU_CYCLE_1)
	s_xor_b64 s[2:3], s[2:3], s[8:9]
	s_mul_i32 s12, s2, s7
	s_mul_hi_u32 s13, s2, s10
	s_mul_hi_u32 s11, s2, s7
	;; [unrolled: 1-line block ×3, first 2 shown]
	s_mul_i32 s10, s3, s10
	s_add_u32 s12, s13, s12
	s_addc_u32 s11, 0, s11
	s_mul_hi_u32 s17, s3, s7
	s_add_u32 s10, s12, s10
	s_mul_i32 s7, s3, s7
	s_addc_u32 s10, s11, s18
	s_addc_u32 s11, s17, 0
	s_add_u32 s7, s10, s7
	s_addc_u32 s10, 0, s11
	s_mul_i32 s12, s62, s7
	s_add_u32 s11, s7, 1
	v_sub_co_u32 v1, s2, s2, s12
	s_mul_hi_u32 s12, s62, s7
	s_addc_u32 s13, s10, 0
	s_mul_i32 s17, s62, s10
	s_delay_alu instid0(VALU_DEP_1)
	v_sub_co_u32 v4, s18, v1, s62
	s_add_u32 s19, s7, 2
	s_addc_u32 s20, s10, 0
	s_add_i32 s12, s12, s17
	s_cmp_lg_u32 s2, 0
	v_readfirstlane_b32 s2, v4
	s_subb_u32 s3, s3, s12
	s_cmp_lg_u32 s18, 0
	s_subb_u32 s12, s3, 0
	s_delay_alu instid0(VALU_DEP_1) | instskip(SKIP_4) | instid1(SALU_CYCLE_1)
	s_cmp_ge_u32 s2, s62
	s_cselect_b32 s2, -1, 0
	s_cmp_eq_u32 s12, 0
	v_readfirstlane_b32 s12, v1
	s_cselect_b32 s2, s2, -1
	s_cmp_lg_u32 s2, 0
	s_cselect_b32 s2, s19, s11
	s_cselect_b32 s11, s20, s13
	s_cmp_ge_u32 s12, s62
	s_cselect_b32 s12, -1, 0
	s_cmp_eq_u32 s3, 0
	s_cselect_b32 s3, s12, -1
	s_delay_alu instid0(SALU_CYCLE_1) | instskip(SKIP_2) | instid1(SALU_CYCLE_1)
	s_cmp_lg_u32 s3, 0
	s_cselect_b32 s3, s11, s10
	s_cselect_b32 s2, s2, s7
	s_xor_b64 s[2:3], s[2:3], s[8:9]
	s_delay_alu instid0(SALU_CYCLE_1)
	s_sub_u32 s2, s2, s8
	s_subb_u32 s3, s3, s8
	s_cbranch_execnz .LBB4_5
.LBB4_4:
	v_cvt_f32_u32_e32 v1, s62
	s_sub_i32 s3, 0, s62
	s_delay_alu instid0(VALU_DEP_1) | instskip(SKIP_2) | instid1(VALU_DEP_1)
	v_rcp_iflag_f32_e32 v1, v1
	s_waitcnt_depctr 0xfff
	v_mul_f32_e32 v1, 0x4f7ffffe, v1
	v_cvt_u32_f32_e32 v1, v1
	s_delay_alu instid0(VALU_DEP_1) | instskip(NEXT) | instid1(VALU_DEP_1)
	v_readfirstlane_b32 s2, v1
	s_mul_i32 s3, s3, s2
	s_delay_alu instid0(SALU_CYCLE_1) | instskip(NEXT) | instid1(SALU_CYCLE_1)
	s_mul_hi_u32 s3, s2, s3
	s_add_i32 s2, s2, s3
	s_delay_alu instid0(SALU_CYCLE_1) | instskip(NEXT) | instid1(SALU_CYCLE_1)
	s_mul_hi_u32 s2, s6, s2
	s_mul_i32 s3, s2, s62
	s_delay_alu instid0(SALU_CYCLE_1)
	s_sub_i32 s3, s6, s3
	s_add_i32 s6, s2, 1
	s_sub_i32 s7, s3, s62
	s_cmp_ge_u32 s3, s62
	s_cselect_b32 s2, s6, s2
	s_cselect_b32 s3, s7, s3
	s_add_i32 s6, s2, 1
	s_cmp_ge_u32 s3, s62
	s_mov_b32 s3, 0
	s_cselect_b32 s2, s6, s2
.LBB4_5:
	v_mov_b32_e32 v1, 0
	s_add_u32 s2, s2, 1
	s_addc_u32 s3, s3, 0
	s_mul_hi_u32 s6, s33, s2
	s_mul_i32 s3, s33, s3
	v_mad_u64_u32 v[12:13], null, s14, s15, v[0:1]
	s_mul_hi_u32 s7, s16, s14
	s_add_i32 s3, s6, s3
	s_mul_i32 s7, s7, s2
	s_mul_i32 s2, s33, s2
	s_add_i32 s3, s3, s7
	s_mov_b32 s6, exec_lo
	s_lshl_b64 s[2:3], s[2:3], 2
	s_delay_alu instid0(SALU_CYCLE_1)
	v_cmpx_gt_i64_e64 s[2:3], v[12:13]
	s_cbranch_execz .LBB4_26
; %bb.6:
	v_alignbit_b32 v19, v3, v2, 2
	v_mad_u64_u32 v[6:7], null, 0xcd9e8d57, v12, 0
	v_lshrrev_b32_e32 v20, 2, v3
	s_waitcnt vmcnt(0)
	v_dual_mov_b32 v39, v11 :: v_dual_add_nc_u32 v24, 0x8ff34781, v10
	v_mad_u64_u32 v[4:5], null, 0xd2511f53, v19, 0
	v_add_co_u32 v22, null, 0x9e3779b9, v10
	s_delay_alu instid0(VALU_DEP_3)
	v_add_co_u32 v21, null, 0xbb67ae85, v39
	v_rndne_f32_e32 v40, 0x7fc00000
	v_and_b32_e32 v23, 3, v2
	v_xor_b32_e32 v3, v5, v11
	v_xor3_b32 v5, v10, v7, v20
	v_add_co_u32 v25, null, 0x3c6ef372, v10
	v_add_co_u32 v26, null, 0x76cf5d0a, v39
	s_delay_alu instid0(VALU_DEP_4) | instskip(NEXT) | instid1(VALU_DEP_4)
	v_xor_b32_e32 v3, v3, v13
	v_mad_u64_u32 v[7:8], null, 0xd2511f53, v5, 0
	v_add_co_u32 v29, null, 0xdaa66d2b, v10
	s_delay_alu instid0(VALU_DEP_3) | instskip(SKIP_1) | instid1(VALU_DEP_4)
	v_mad_u64_u32 v[14:15], null, 0xcd9e8d57, v3, 0
	v_add_co_u32 v30, null, 0x32370b8f, v39
	v_xor3_b32 v4, v21, v8, v4
	v_add_co_u32 v32, null, 0x78dde6e4, v10
	v_add_co_u32 v34, null, 0xed9eba14, v39
	v_xor3_b32 v6, v22, v15, v6
	s_delay_alu instid0(VALU_DEP_4) | instskip(SKIP_1) | instid1(VALU_DEP_3)
	v_mad_u64_u32 v[2:3], null, 0xcd9e8d57, v4, 0
	v_add_co_u32 v31, null, 0x1715609d, v10
	v_mad_u64_u32 v[4:5], null, 0xd2511f53, v6, 0
	v_add_co_u32 v36, null, 0xa9066899, v39
	s_delay_alu instid0(VALU_DEP_4) | instskip(SKIP_3) | instid1(VALU_DEP_4)
	v_xor3_b32 v3, v25, v3, v14
	v_add_co_u32 v33, null, 0xb54cda56, v10
	v_add_co_u32 v37, null, 0x646e171e, v39
	v_xor3_b32 v9, v26, v5, v7
	v_mad_u64_u32 v[5:6], null, 0xd2511f53, v3, 0
	v_add_co_u32 v28, null, 0x5384540f, v10
	s_delay_alu instid0(VALU_DEP_3) | instskip(SKIP_1) | instid1(VALU_DEP_4)
	v_mad_u64_u32 v[7:8], null, 0xcd9e8d57, v9, 0
	v_add_co_u32 v38, null, 0x1fd5c5a3, v39
	v_xor3_b32 v4, v30, v6, v4
	v_dual_mov_b32 v17, 0x3fb8aa3b :: v_dual_mov_b32 v46, v13
	s_clause 0x1
	s_load_b128 s[8:11], s[0:1], 0x38
	s_load_b64 s[6:7], s[0:1], 0x30
	s_delay_alu instid0(VALU_DEP_4) | instskip(SKIP_3) | instid1(VALU_DEP_2)
	v_xor3_b32 v6, v29, v8, v2
	v_mad_u64_u32 v[2:3], null, 0xcd9e8d57, v4, 0
	s_mul_i32 s0, s16, 3
	s_add_i32 s17, s15, s16
	v_mad_u64_u32 v[8:9], null, 0xd2511f53, v6, 0
	s_add_i32 s0, s15, s0
	v_mad_u64_u32 v[14:15], null, s15, s14, v[0:1]
	s_delay_alu instid0(VALU_DEP_3) | instskip(SKIP_1) | instid1(VALU_DEP_4)
	v_xor3_b32 v6, v32, v3, v7
	v_mad_u64_u32 v[15:16], null, s17, s14, v[0:1]
	v_xor3_b32 v7, v34, v9, v5
	v_add_co_u32 v35, null, 0xf1bbcdc8, v10
	s_delay_alu instid0(VALU_DEP_4) | instskip(NEXT) | instid1(VALU_DEP_3)
	v_mad_u64_u32 v[3:4], null, 0xd2511f53, v6, 0
	v_mad_u64_u32 v[5:6], null, 0xcd9e8d57, v7, 0
	v_add_co_u32 v39, null, 0xdb3d7428, v39
	s_lshl_b32 s1, s16, 1
	s_waitcnt lgkmcnt(0)
	v_mul_lo_u32 v43, s8, v15
	s_delay_alu instid0(VALU_DEP_4) | instskip(SKIP_1) | instid1(VALU_DEP_4)
	v_xor3_b32 v4, v36, v4, v8
	s_add_i32 s15, s15, s1
	v_xor3_b32 v2, v31, v6, v2
	v_mov_b32_e32 v45, v12
	s_mov_b32 s12, 0x55555555
	v_mad_u64_u32 v[6:7], null, 0xcd9e8d57, v4, 0
	s_delay_alu instid0(VALU_DEP_3) | instskip(SKIP_4) | instid1(VALU_DEP_2)
	v_mad_u64_u32 v[8:9], null, 0xd2511f53, v2, 0
	s_mov_b32 s18, 0xd7f4df2e
	s_mov_b32 s20, 0x16291751
	s_mov_b32 s22, 0x9b27acf1
	s_mov_b32 s24, 0x998ef7b6
	v_xor3_b32 v4, v33, v7, v5
	s_mov_b32 s26, 0xfefa39ef
	s_delay_alu instid0(VALU_DEP_2) | instskip(SKIP_3) | instid1(VALU_DEP_2)
	v_xor3_b32 v7, v37, v9, v3
	s_mov_b32 s28, 0x3b39803f
	s_mov_b32 s30, 0x6fdffd2b
	v_mad_u64_u32 v[2:3], null, 0xd2511f53, v4, 0
	v_mad_u64_u32 v[4:5], null, 0xcd9e8d57, v7, 0
	v_fmaak_f32 v7, s0, v17, 0xffc00000
	v_mad_u64_u32 v[16:17], null, s0, s14, v[0:1]
	s_mov_b32 s34, 0xf99eb0bb
	s_delay_alu instid0(VALU_DEP_4)
	v_xor3_b32 v3, v38, v3, v8
	v_sub_f32_e32 v8, 0x7fc00000, v40
	v_xor3_b32 v9, v28, v5, v6
	v_fmac_f32_e64 v7, 0x32a5705f, s0
	s_mul_i32 s0, s16, s8
	v_mad_u64_u32 v[5:6], null, 0xcd9e8d57, v3, 0
	s_delay_alu instid0(VALU_DEP_3) | instskip(NEXT) | instid1(VALU_DEP_3)
	v_mad_u64_u32 v[17:18], null, 0xd2511f53, v9, 0
	v_add_f32_e32 v3, v8, v7
	v_mad_u64_u32 v[8:9], null, s15, s14, v[0:1]
	v_cvt_i32_f32_e32 v0, v40
	v_xor3_b32 v4, v35, v6, v4
	s_delay_alu instid0(VALU_DEP_4) | instskip(SKIP_4) | instid1(VALU_DEP_4)
	v_exp_f32_e32 v9, v3
	v_xor3_b32 v18, v39, v18, v2
	v_mul_lo_u32 v40, s8, v14
	v_mul_lo_u32 v41, s8, v16
	v_mad_u64_u32 v[2:3], null, 0xd2511f53, v4, 0
	v_mad_u64_u32 v[6:7], null, 0xcd9e8d57, v18, 0
	v_add_nc_u32_e32 v27, 0x96a522ad, v11
	v_mul_lo_u32 v42, s8, v8
	s_delay_alu instid0(TRANS32_DEP_1)
	v_ldexp_f32 v44, v9, v0
	s_mul_i32 s0, s0, s14
	v_mov_b32_e32 v8, v2
	s_mov_b32 s14, 0x6b47b09a
	v_xor3_b32 v5, v7, v5, v24
	v_xor3_b32 v7, v3, v17, v27
	s_mov_b32 s16, 0xbf559e2b
	s_mov_b32 s36, 0xd5f14825
	s_mov_b32 s38, 0xcdfe9424
	s_mov_b32 s40, 0x67754fff
	s_mov_b32 s42, 0xe625be09
	s_mov_b32 s44, 0x54442d18
	s_mov_b32 s46, 0xca1d4f33
	s_mov_b32 s48, 0x2e21c33
	s_mov_b32 s50, 0x7294bff9
	s_mov_b32 s52, 0x67b90b37
	s_mov_b32 s54, 0x7e3c325b
	s_mov_b32 s56, 0x81b5a67
	s_mov_b32 s58, 0xc9be45de
	s_mov_b32 s11, 0
	s_lshl_b32 s63, s33, 1
	s_mul_i32 s64, s33, 3
	s_mov_b32 s13, 0x3fe55555
	s_mov_b32 s15, 0x3fc38538
	;; [unrolled: 1-line block ×23, first 2 shown]
	s_lshl_b32 s8, s0, 2
	s_mov_b32 s60, 0x55555780
	s_mov_b32 s65, 0
	s_branch .LBB4_8
.LBB4_7:                                ;   in Loop: Header=BB4_8 Depth=1
	s_or_b32 exec_lo, exec_lo, s0
	v_add_co_u32 v12, vcc_lo, v12, s62
	v_add_co_ci_u32_e32 v13, vcc_lo, 0, v13, vcc_lo
	v_mov_b32_e32 v5, v14
	s_add_i32 s65, s65, s8
	s_waitcnt_vscnt null, 0x0
	s_delay_alu instid0(VALU_DEP_2)
	v_cmp_le_i64_e32 vcc_lo, s[2:3], v[12:13]
	s_barrier
	v_mov_b32_e32 v8, v5
	v_dual_mov_b32 v7, v4 :: v_dual_mov_b32 v6, v3
	v_mov_b32_e32 v5, v2
	s_or_b32 s11, vcc_lo, s11
	buffer_gl0_inv
	s_and_not1_b32 exec_lo, exec_lo, s11
	s_cbranch_execz .LBB4_26
.LBB4_8:                                ; =>This Inner Loop Header: Depth=1
	v_add_co_u32 v19, vcc_lo, v19, 1
	s_delay_alu instid0(VALU_DEP_1) | instskip(SKIP_1) | instid1(VALU_DEP_3)
	v_cndmask_b32_e64 v0, 0, 1, vcc_lo
	v_add_co_ci_u32_e32 v20, vcc_lo, 0, v20, vcc_lo
	v_mad_u64_u32 v[2:3], null, 0xd2511f53, v19, 0
	s_mov_b32 s0, exec_lo
	s_delay_alu instid0(VALU_DEP_2) | instskip(SKIP_1) | instid1(VALU_DEP_1)
	v_cmp_eq_u32_e32 vcc_lo, 0, v20
	v_cndmask_b32_e32 v0, 0, v0, vcc_lo
	v_add_nc_u32_e32 v45, v0, v45
	s_delay_alu instid0(VALU_DEP_1) | instskip(SKIP_2) | instid1(VALU_DEP_2)
	v_cmp_eq_u32_e32 vcc_lo, 0, v45
	v_cndmask_b32_e32 v0, 0, v0, vcc_lo
	v_mad_u64_u32 v[14:15], null, 0xcd9e8d57, v45, 0
	v_add_nc_u32_e32 v46, v0, v46
	v_xor_b32_e32 v0, v3, v11
	s_delay_alu instid0(VALU_DEP_3) | instskip(NEXT) | instid1(VALU_DEP_2)
	v_xor3_b32 v9, v15, v10, v20
	v_xor_b32_e32 v0, v46, v0
	s_delay_alu instid0(VALU_DEP_2) | instskip(NEXT) | instid1(VALU_DEP_2)
	v_mad_u64_u32 v[3:4], null, 0xd2511f53, v9, 0
	v_mad_u64_u32 v[15:16], null, 0xcd9e8d57, v0, 0
	s_delay_alu instid0(VALU_DEP_2) | instskip(NEXT) | instid1(VALU_DEP_2)
	v_xor3_b32 v0, v21, v4, v2
	v_xor3_b32 v2, v22, v16, v14
	s_delay_alu instid0(VALU_DEP_2) | instskip(NEXT) | instid1(VALU_DEP_2)
	v_mad_u64_u32 v[16:17], null, 0xcd9e8d57, v0, 0
	v_mad_u64_u32 v[47:48], null, 0xd2511f53, v2, 0
	s_delay_alu instid0(VALU_DEP_2) | instskip(NEXT) | instid1(VALU_DEP_2)
	v_xor3_b32 v0, v25, v17, v15
	v_xor3_b32 v4, v26, v48, v3
	;; [unrolled: 6-line block ×9, first 2 shown]
	s_delay_alu instid0(VALU_DEP_2)
	v_mov_b32_e32 v4, v9
	v_cmpx_lt_i32_e32 1, v23
	s_xor_b32 s0, exec_lo, s0
	s_cbranch_execz .LBB4_14
; %bb.9:                                ;   in Loop: Header=BB4_8 Depth=1
	s_mov_b32 s1, exec_lo
	v_cmpx_lt_i32_e32 2, v23
	s_xor_b32 s1, exec_lo, s1
; %bb.10:                               ;   in Loop: Header=BB4_8 Depth=1
	v_dual_mov_b32 v6, v8 :: v_dual_mov_b32 v7, v2
	v_mov_b32_e32 v8, v3
	s_delay_alu instid0(VALU_DEP_2) | instskip(NEXT) | instid1(VALU_DEP_3)
	v_mov_b32_e32 v5, v6
	v_mov_b32_e32 v6, v7
	s_delay_alu instid0(VALU_DEP_3)
	v_mov_b32_e32 v7, v8
	v_mov_b32_e32 v8, v9
; %bb.11:                               ;   in Loop: Header=BB4_8 Depth=1
	s_and_not1_saveexec_b32 s1, s1
; %bb.12:                               ;   in Loop: Header=BB4_8 Depth=1
	s_delay_alu instid0(VALU_DEP_1)
	v_dual_mov_b32 v5, v7 :: v_dual_mov_b32 v6, v8
	v_dual_mov_b32 v7, v2 :: v_dual_mov_b32 v8, v3
; %bb.13:                               ;   in Loop: Header=BB4_8 Depth=1
	s_or_b32 exec_lo, exec_lo, s1
.LBB4_14:                               ;   in Loop: Header=BB4_8 Depth=1
	s_and_not1_saveexec_b32 s0, s0
	s_cbranch_execz .LBB4_18
; %bb.15:                               ;   in Loop: Header=BB4_8 Depth=1
	s_mov_b32 s1, exec_lo
	v_cmpx_eq_u32_e32 1, v23
; %bb.16:                               ;   in Loop: Header=BB4_8 Depth=1
	v_dual_mov_b32 v5, v6 :: v_dual_mov_b32 v6, v7
	v_dual_mov_b32 v7, v8 :: v_dual_mov_b32 v8, v2
; %bb.17:                               ;   in Loop: Header=BB4_8 Depth=1
	s_or_b32 exec_lo, exec_lo, s1
.LBB4_18:                               ;   in Loop: Header=BB4_8 Depth=1
	s_delay_alu instid0(SALU_CYCLE_1) | instskip(NEXT) | instid1(VALU_DEP_2)
	s_or_b32 exec_lo, exec_lo, s0
	v_mov_b32_e32 v0, v6
	s_mov_b32 s61, s13
	s_delay_alu instid0(VALU_DEP_1) | instskip(NEXT) | instid1(VALU_DEP_1)
	v_lshlrev_b64 v[15:16], 21, v[0:1]
	v_cvt_f64_u32_e32 v[16:17], v16
	s_delay_alu instid0(VALU_DEP_2) | instskip(NEXT) | instid1(VALU_DEP_1)
	v_xor_b32_e32 v0, v15, v5
	v_cvt_f64_u32_e32 v[5:6], v0
	s_delay_alu instid0(VALU_DEP_3) | instskip(SKIP_1) | instid1(VALU_DEP_2)
	v_ldexp_f64 v[15:16], v[16:17], 32
	v_mov_b32_e32 v17, v1
	v_add_f64 v[5:6], v[15:16], v[5:6]
	s_delay_alu instid0(VALU_DEP_1) | instskip(NEXT) | instid1(VALU_DEP_1)
	v_fma_f64 v[15:16], 0x3ca00000, v[5:6], 0x3ca00000
	v_frexp_mant_f64_e32 v[5:6], v[15:16]
	v_frexp_exp_i32_f64_e32 v0, v[15:16]
	v_cmp_eq_f64_e64 s0, 0x7ff00000, v[15:16]
	s_delay_alu instid0(VALU_DEP_3) | instskip(SKIP_1) | instid1(VALU_DEP_4)
	v_cmp_gt_f64_e32 vcc_lo, s[12:13], v[5:6]
	v_cndmask_b32_e64 v18, 0x3ff00000, 2.0, vcc_lo
	v_subrev_co_ci_u32_e32 v0, vcc_lo, 0, v0, vcc_lo
	s_delay_alu instid0(VALU_DEP_2) | instskip(NEXT) | instid1(VALU_DEP_1)
	v_mul_f64 v[5:6], v[5:6], v[17:18]
	v_add_f64 v[17:18], v[5:6], 1.0
	v_add_f64 v[51:52], v[5:6], -1.0
	s_delay_alu instid0(VALU_DEP_2) | instskip(SKIP_1) | instid1(VALU_DEP_1)
	v_rcp_f64_e32 v[47:48], v[17:18]
	v_add_f64 v[53:54], v[17:18], -1.0
	v_add_f64 v[5:6], v[5:6], -v[53:54]
	s_waitcnt_depctr 0xfff
	v_fma_f64 v[49:50], -v[17:18], v[47:48], 1.0
	s_delay_alu instid0(VALU_DEP_1) | instskip(NEXT) | instid1(VALU_DEP_1)
	v_fma_f64 v[47:48], v[49:50], v[47:48], v[47:48]
	v_fma_f64 v[49:50], -v[17:18], v[47:48], 1.0
	s_delay_alu instid0(VALU_DEP_1) | instskip(NEXT) | instid1(VALU_DEP_1)
	v_fma_f64 v[47:48], v[49:50], v[47:48], v[47:48]
	v_mul_f64 v[49:50], v[51:52], v[47:48]
	s_delay_alu instid0(VALU_DEP_1) | instskip(NEXT) | instid1(VALU_DEP_1)
	v_mul_f64 v[55:56], v[17:18], v[49:50]
	v_fma_f64 v[17:18], v[49:50], v[17:18], -v[55:56]
	s_delay_alu instid0(VALU_DEP_1) | instskip(NEXT) | instid1(VALU_DEP_1)
	v_fma_f64 v[5:6], v[49:50], v[5:6], v[17:18]
	v_add_f64 v[17:18], v[55:56], v[5:6]
	s_delay_alu instid0(VALU_DEP_1) | instskip(SKIP_1) | instid1(VALU_DEP_2)
	v_add_f64 v[53:54], v[51:52], -v[17:18]
	v_add_f64 v[55:56], v[17:18], -v[55:56]
	;; [unrolled: 1-line block ×3, first 2 shown]
	s_delay_alu instid0(VALU_DEP_2) | instskip(NEXT) | instid1(VALU_DEP_2)
	v_add_f64 v[5:6], v[55:56], -v[5:6]
	v_add_f64 v[17:18], v[51:52], -v[17:18]
	s_delay_alu instid0(VALU_DEP_1) | instskip(NEXT) | instid1(VALU_DEP_1)
	v_add_f64 v[5:6], v[5:6], v[17:18]
	v_add_f64 v[5:6], v[53:54], v[5:6]
	s_delay_alu instid0(VALU_DEP_1) | instskip(NEXT) | instid1(VALU_DEP_1)
	v_mul_f64 v[5:6], v[47:48], v[5:6]
	v_add_f64 v[17:18], v[49:50], v[5:6]
	s_delay_alu instid0(VALU_DEP_1) | instskip(NEXT) | instid1(VALU_DEP_1)
	v_mul_f64 v[47:48], v[17:18], v[17:18]
	v_fma_f64 v[51:52], v[47:48], s[16:17], s[14:15]
	v_mul_f64 v[53:54], v[17:18], v[47:48]
	s_delay_alu instid0(VALU_DEP_2) | instskip(NEXT) | instid1(VALU_DEP_1)
	v_fma_f64 v[51:52], v[47:48], v[51:52], s[18:19]
	v_fma_f64 v[51:52], v[47:48], v[51:52], s[20:21]
	s_delay_alu instid0(VALU_DEP_1) | instskip(NEXT) | instid1(VALU_DEP_1)
	v_fma_f64 v[51:52], v[47:48], v[51:52], s[22:23]
	v_fma_f64 v[51:52], v[47:48], v[51:52], s[24:25]
	s_delay_alu instid0(VALU_DEP_1) | instskip(SKIP_3) | instid1(VALU_DEP_3)
	v_fma_f64 v[47:48], v[47:48], v[51:52], s[60:61]
	v_ldexp_f64 v[51:52], v[17:18], 1
	v_add_f64 v[17:18], v[17:18], -v[49:50]
	s_mov_b32 s61, exec_lo
	v_mul_f64 v[47:48], v[53:54], v[47:48]
	v_cvt_f64_i32_e32 v[53:54], v0
	s_delay_alu instid0(VALU_DEP_3) | instskip(SKIP_1) | instid1(VALU_DEP_1)
	v_add_f64 v[5:6], v[5:6], -v[17:18]
	v_mov_b32_e32 v0, v8
	v_lshlrev_b64 v[8:9], 21, v[0:1]
	s_delay_alu instid0(VALU_DEP_1) | instskip(NEXT) | instid1(VALU_DEP_1)
	v_xor_b32_e32 v0, v8, v7
	v_cvt_f64_u32_e32 v[7:8], v0
	v_add_f64 v[49:50], v[51:52], v[47:48]
	v_mul_f64 v[55:56], v[53:54], s[26:27]
	v_ldexp_f64 v[5:6], v[5:6], 1
	s_delay_alu instid0(VALU_DEP_3) | instskip(NEXT) | instid1(VALU_DEP_3)
	v_add_f64 v[17:18], v[49:50], -v[51:52]
	v_fma_f64 v[51:52], v[53:54], s[26:27], -v[55:56]
	s_delay_alu instid0(VALU_DEP_2) | instskip(NEXT) | instid1(VALU_DEP_2)
	v_add_f64 v[17:18], v[47:48], -v[17:18]
	v_fma_f64 v[47:48], v[53:54], s[28:29], v[51:52]
	s_delay_alu instid0(VALU_DEP_2) | instskip(NEXT) | instid1(VALU_DEP_2)
	v_add_f64 v[5:6], v[5:6], v[17:18]
	v_add_f64 v[17:18], v[55:56], v[47:48]
	s_delay_alu instid0(VALU_DEP_2) | instskip(NEXT) | instid1(VALU_DEP_2)
	v_add_f64 v[51:52], v[49:50], v[5:6]
	v_add_f64 v[55:56], v[17:18], -v[55:56]
	s_delay_alu instid0(VALU_DEP_2) | instskip(SKIP_1) | instid1(VALU_DEP_3)
	v_add_f64 v[53:54], v[17:18], v[51:52]
	v_add_f64 v[49:50], v[51:52], -v[49:50]
	v_add_f64 v[47:48], v[47:48], -v[55:56]
	s_delay_alu instid0(VALU_DEP_3) | instskip(NEXT) | instid1(VALU_DEP_3)
	v_add_f64 v[57:58], v[53:54], -v[17:18]
	v_add_f64 v[49:50], v[5:6], -v[49:50]
	s_delay_alu instid0(VALU_DEP_2) | instskip(SKIP_2) | instid1(VALU_DEP_4)
	v_add_f64 v[59:60], v[53:54], -v[57:58]
	v_add_f64 v[5:6], v[51:52], -v[57:58]
	v_cvt_f64_u32_e32 v[51:52], v9
	v_add_f64 v[55:56], v[47:48], v[49:50]
	s_delay_alu instid0(VALU_DEP_4) | instskip(NEXT) | instid1(VALU_DEP_1)
	v_add_f64 v[17:18], v[17:18], -v[59:60]
	v_add_f64 v[5:6], v[5:6], v[17:18]
	s_delay_alu instid0(VALU_DEP_4) | instskip(NEXT) | instid1(VALU_DEP_4)
	v_ldexp_f64 v[17:18], v[51:52], 32
	v_add_f64 v[51:52], v[55:56], -v[47:48]
	s_delay_alu instid0(VALU_DEP_3) | instskip(NEXT) | instid1(VALU_DEP_3)
	v_add_f64 v[57:58], v[55:56], v[5:6]
	v_add_f64 v[5:6], v[17:18], v[7:8]
	s_delay_alu instid0(VALU_DEP_3) | instskip(SKIP_1) | instid1(VALU_DEP_4)
	v_add_f64 v[7:8], v[55:56], -v[51:52]
	v_add_f64 v[49:50], v[49:50], -v[51:52]
	v_add_f64 v[17:18], v[53:54], v[57:58]
	s_delay_alu instid0(VALU_DEP_4) | instskip(NEXT) | instid1(VALU_DEP_4)
	v_fma_f64 v[5:6], 0x3cb00000, v[5:6], 0x3cb00000
	v_add_f64 v[7:8], v[47:48], -v[7:8]
	s_delay_alu instid0(VALU_DEP_3) | instskip(NEXT) | instid1(VALU_DEP_3)
	v_add_f64 v[47:48], v[17:18], -v[53:54]
	v_mul_f64 v[51:52], v[5:6], 0.5
	s_delay_alu instid0(VALU_DEP_3) | instskip(NEXT) | instid1(VALU_DEP_3)
	v_add_f64 v[7:8], v[49:50], v[7:8]
	v_add_f64 v[47:48], v[57:58], -v[47:48]
	s_delay_alu instid0(VALU_DEP_3) | instskip(SKIP_1) | instid1(VALU_DEP_3)
	v_fract_f64_e32 v[49:50], v[51:52]
	v_cmp_neq_f64_e32 vcc_lo, 0x7ff00000, v[51:52]
	v_add_f64 v[7:8], v[7:8], v[47:48]
	s_delay_alu instid0(VALU_DEP_3) | instskip(NEXT) | instid1(VALU_DEP_2)
	v_add_f64 v[47:48], v[49:50], v[49:50]
	v_add_f64 v[7:8], v[17:18], v[7:8]
	s_delay_alu instid0(VALU_DEP_2) | instskip(SKIP_1) | instid1(VALU_DEP_3)
	v_dual_cndmask_b32 v9, 0, v48 :: v_dual_cndmask_b32 v0, 0, v47
	v_cmp_lt_f64_e32 vcc_lo, 1.0, v[5:6]
	v_cndmask_b32_e64 v8, v8, v16, s0
	s_delay_alu instid0(VALU_DEP_4) | instskip(SKIP_2) | instid1(VALU_DEP_3)
	v_cndmask_b32_e64 v7, v7, v15, s0
	v_cmp_neq_f64_e64 s0, 0, v[15:16]
	v_dual_cndmask_b32 v16, v6, v9 :: v_dual_cndmask_b32 v15, v5, v0
	v_mul_f64 v[7:8], v[7:8], -2.0
	s_delay_alu instid0(VALU_DEP_2) | instskip(NEXT) | instid1(VALU_DEP_2)
	v_add_f64 v[17:18], v[15:16], v[15:16]
	v_cndmask_b32_e64 v8, 0x7ff00000, v8, s0
	s_delay_alu instid0(VALU_DEP_3) | instskip(NEXT) | instid1(VALU_DEP_3)
	v_cndmask_b32_e64 v7, 0, v7, s0
	v_rndne_f64_e32 v[17:18], v[17:18]
	s_delay_alu instid0(VALU_DEP_2) | instskip(NEXT) | instid1(VALU_DEP_2)
	v_cmp_gt_f64_e32 vcc_lo, 0x10000000, v[7:8]
	v_fma_f64 v[15:16], v[17:18], -0.5, v[15:16]
	v_cvt_i32_f64_e32 v9, v[17:18]
	v_cndmask_b32_e64 v0, 0, 1, vcc_lo
	s_delay_alu instid0(VALU_DEP_1) | instskip(NEXT) | instid1(VALU_DEP_1)
	v_lshlrev_b32_e32 v0, 8, v0
	v_ldexp_f64 v[7:8], v[7:8], v0
	v_cndmask_b32_e64 v0, 0, 0xffffff80, vcc_lo
	v_cmp_lg_f64_e32 vcc_lo, 0x7ff00000, v[5:6]
	v_mul_f64 v[51:52], v[15:16], v[15:16]
	v_and_b32_e32 v5, 1, v9
	v_rsq_f64_e32 v[47:48], v[7:8]
	v_cmp_class_f64_e64 s0, v[7:8], 0x260
	s_delay_alu instid0(VALU_DEP_3)
	v_fma_f64 v[55:56], v[51:52], s[34:35], s[30:31]
	v_fma_f64 v[57:58], v[51:52], s[48:49], s[46:47]
	v_mul_f64 v[59:60], v[15:16], v[51:52]
	s_waitcnt_depctr 0xfff
	v_mul_f64 v[49:50], v[7:8], v[47:48]
	v_mul_f64 v[47:48], v[47:48], 0.5
	v_fma_f64 v[55:56], v[51:52], v[55:56], s[36:37]
	v_fma_f64 v[57:58], v[51:52], v[57:58], s[50:51]
	s_delay_alu instid0(VALU_DEP_3) | instskip(NEXT) | instid1(VALU_DEP_3)
	v_fma_f64 v[53:54], -v[47:48], v[49:50], 0.5
	v_fma_f64 v[55:56], v[51:52], v[55:56], s[38:39]
	s_delay_alu instid0(VALU_DEP_3) | instskip(NEXT) | instid1(VALU_DEP_3)
	v_fma_f64 v[57:58], v[51:52], v[57:58], s[52:53]
	v_fma_f64 v[49:50], v[49:50], v[53:54], v[49:50]
	;; [unrolled: 1-line block ×3, first 2 shown]
	s_delay_alu instid0(VALU_DEP_2) | instskip(NEXT) | instid1(VALU_DEP_1)
	v_fma_f64 v[53:54], -v[49:50], v[49:50], v[7:8]
	v_fma_f64 v[49:50], v[53:54], v[47:48], v[49:50]
	v_fma_f64 v[53:54], v[51:52], v[55:56], s[40:41]
	;; [unrolled: 1-line block ×3, first 2 shown]
	s_delay_alu instid0(VALU_DEP_3) | instskip(NEXT) | instid1(VALU_DEP_3)
	v_fma_f64 v[57:58], -v[49:50], v[49:50], v[7:8]
	v_fma_f64 v[53:54], v[51:52], v[53:54], s[42:43]
	s_delay_alu instid0(VALU_DEP_3) | instskip(NEXT) | instid1(VALU_DEP_3)
	v_fma_f64 v[55:56], v[51:52], v[55:56], s[56:57]
	v_fma_f64 v[47:48], v[57:58], v[47:48], v[49:50]
	s_delay_alu instid0(VALU_DEP_3) | instskip(NEXT) | instid1(VALU_DEP_3)
	v_mul_f64 v[49:50], v[59:60], v[53:54]
	v_fma_f64 v[53:54], v[51:52], v[55:56], s[58:59]
	s_delay_alu instid0(VALU_DEP_3) | instskip(NEXT) | instid1(VALU_DEP_3)
	v_ldexp_f64 v[47:48], v[47:48], v0
	v_fma_f64 v[15:16], v[15:16], s[44:45], v[49:50]
	s_delay_alu instid0(VALU_DEP_3) | instskip(SKIP_1) | instid1(VALU_DEP_4)
	v_fma_f64 v[17:18], v[51:52], v[53:54], 1.0
	v_lshlrev_b32_e32 v0, 30, v9
	v_cndmask_b32_e64 v8, v48, v8, s0
	v_cndmask_b32_e64 v7, v47, v7, s0
	v_cmp_eq_u32_e64 s0, 0, v5
	v_cmpx_gt_i64_e64 s[4:5], v[12:13]
	s_cbranch_execz .LBB4_20
; %bb.19:                               ;   in Loop: Header=BB4_8 Depth=1
	v_xor_b32_e32 v5, v0, v6
	s_delay_alu instid0(VALU_DEP_3) | instskip(SKIP_1) | instid1(VALU_DEP_3)
	v_cndmask_b32_e64 v6, v18, v16, s0
	v_cndmask_b32_e64 v9, v17, v15, s0
	v_and_b32_e32 v5, 0x80000000, v5
	s_delay_alu instid0(VALU_DEP_1) | instskip(NEXT) | instid1(VALU_DEP_3)
	v_xor_b32_e32 v6, v6, v5
	v_cndmask_b32_e32 v5, 0, v9, vcc_lo
	s_delay_alu instid0(VALU_DEP_2) | instskip(NEXT) | instid1(VALU_DEP_1)
	v_cndmask_b32_e32 v6, 0x7ff80000, v6, vcc_lo
	v_mul_f64 v[5:6], v[7:8], v[5:6]
	s_delay_alu instid0(VALU_DEP_1) | instskip(NEXT) | instid1(VALU_DEP_1)
	v_cvt_f32_f64_e32 v5, v[5:6]
	v_fma_f32 v9, s10, v5, s9
	s_delay_alu instid0(VALU_DEP_1) | instskip(SKIP_1) | instid1(VALU_DEP_2)
	v_mul_f32_e32 v5, 0x3fb8aa3b, v9
	v_cmp_ngt_f32_e64 s1, 0xc2ce8ed0, v9
	v_fma_f32 v6, 0x3fb8aa3b, v9, -v5
	v_rndne_f32_e32 v47, v5
	s_delay_alu instid0(VALU_DEP_1) | instskip(NEXT) | instid1(VALU_DEP_1)
	v_dual_fmac_f32 v6, 0x32a5705f, v9 :: v_dual_sub_f32 v5, v5, v47
	v_add_f32_e32 v5, v5, v6
	v_cvt_i32_f32_e32 v6, v47
	v_add_nc_u32_e32 v47, s65, v40
	s_delay_alu instid0(VALU_DEP_3) | instskip(SKIP_3) | instid1(VALU_DEP_2)
	v_exp_f32_e32 v5, v5
	s_waitcnt_depctr 0xfff
	v_ldexp_f32 v5, v5, v6
	v_ashrrev_i32_e32 v6, 31, v47
	v_cndmask_b32_e64 v48, 0, v5, s1
	v_add_co_u32 v5, s1, s6, v47
	s_delay_alu instid0(VALU_DEP_1) | instskip(SKIP_1) | instid1(VALU_DEP_1)
	v_add_co_ci_u32_e64 v6, s1, s7, v6, s1
	v_cmp_nlt_f32_e64 s1, 0x42b17218, v9
	v_cndmask_b32_e64 v9, 0x7f800000, v48, s1
	global_store_b32 v[5:6], v9, off
.LBB4_20:                               ;   in Loop: Header=BB4_8 Depth=1
	s_or_b32 exec_lo, exec_lo, s61
	v_add_co_u32 v5, s1, s33, v12
	s_delay_alu instid0(VALU_DEP_1) | instskip(SKIP_1) | instid1(VALU_DEP_1)
	v_add_co_ci_u32_e64 v6, s1, 0, v13, s1
	s_mov_b32 s61, exec_lo
	v_cmpx_gt_i64_e64 s[4:5], v[5:6]
	s_cbranch_execz .LBB4_22
; %bb.21:                               ;   in Loop: Header=BB4_8 Depth=1
	v_xor_b32_e32 v5, 0x80000000, v16
	v_cndmask_b32_e64 v6, v15, v17, s0
	v_and_b32_e32 v0, 0x80000000, v0
	s_delay_alu instid0(VALU_DEP_3) | instskip(NEXT) | instid1(VALU_DEP_1)
	v_cndmask_b32_e64 v5, v5, v18, s0
	v_xor_b32_e32 v0, v5, v0
	s_delay_alu instid0(VALU_DEP_4) | instskip(NEXT) | instid1(VALU_DEP_2)
	v_cndmask_b32_e32 v5, 0, v6, vcc_lo
	v_cndmask_b32_e32 v6, 0x7ff80000, v0, vcc_lo
	s_delay_alu instid0(VALU_DEP_1) | instskip(NEXT) | instid1(VALU_DEP_1)
	v_mul_f64 v[5:6], v[7:8], v[5:6]
	v_cvt_f32_f64_e32 v0, v[5:6]
	s_delay_alu instid0(VALU_DEP_1) | instskip(NEXT) | instid1(VALU_DEP_1)
	v_fma_f32 v0, s10, v0, s9
	v_mul_f32_e32 v5, 0x3fb8aa3b, v0
	v_cmp_ngt_f32_e32 vcc_lo, 0xc2ce8ed0, v0
	s_delay_alu instid0(VALU_DEP_2) | instskip(SKIP_1) | instid1(VALU_DEP_1)
	v_fma_f32 v6, 0x3fb8aa3b, v0, -v5
	v_rndne_f32_e32 v7, v5
	v_dual_fmac_f32 v6, 0x32a5705f, v0 :: v_dual_sub_f32 v5, v5, v7
	s_delay_alu instid0(VALU_DEP_1) | instskip(SKIP_2) | instid1(VALU_DEP_3)
	v_add_f32_e32 v5, v5, v6
	v_cvt_i32_f32_e32 v6, v7
	v_add_nc_u32_e32 v7, s65, v43
	v_exp_f32_e32 v5, v5
	s_waitcnt_depctr 0xfff
	v_ldexp_f32 v5, v5, v6
	v_ashrrev_i32_e32 v6, 31, v7
	s_delay_alu instid0(VALU_DEP_2) | instskip(SKIP_1) | instid1(VALU_DEP_3)
	v_cndmask_b32_e32 v8, 0, v5, vcc_lo
	v_add_co_u32 v5, vcc_lo, s6, v7
	v_add_co_ci_u32_e32 v6, vcc_lo, s7, v6, vcc_lo
	v_cmp_nlt_f32_e32 vcc_lo, 0x42b17218, v0
	s_delay_alu instid0(VALU_DEP_4)
	v_cndmask_b32_e32 v0, 0x7f800000, v8, vcc_lo
	global_store_b32 v[5:6], v0, off
.LBB4_22:                               ;   in Loop: Header=BB4_8 Depth=1
	s_or_b32 exec_lo, exec_lo, s61
	v_add_co_u32 v5, vcc_lo, s63, v12
	v_add_co_ci_u32_e32 v6, vcc_lo, 0, v13, vcc_lo
	s_mov_b32 s0, exec_lo
	s_delay_alu instid0(VALU_DEP_1)
	v_cmpx_gt_i64_e64 s[4:5], v[5:6]
	s_cbranch_execz .LBB4_24
; %bb.23:                               ;   in Loop: Header=BB4_8 Depth=1
	v_add_nc_u32_e32 v0, s65, v42
	s_delay_alu instid0(VALU_DEP_1) | instskip(SKIP_1) | instid1(VALU_DEP_2)
	v_ashrrev_i32_e32 v6, 31, v0
	v_add_co_u32 v5, vcc_lo, s6, v0
	v_add_co_ci_u32_e32 v6, vcc_lo, s7, v6, vcc_lo
	global_store_b32 v[5:6], v44, off
.LBB4_24:                               ;   in Loop: Header=BB4_8 Depth=1
	s_or_b32 exec_lo, exec_lo, s0
	v_add_co_u32 v5, vcc_lo, s64, v12
	v_add_co_ci_u32_e32 v6, vcc_lo, 0, v13, vcc_lo
	s_mov_b32 s0, exec_lo
	s_delay_alu instid0(VALU_DEP_1)
	v_cmpx_gt_i64_e64 s[4:5], v[5:6]
	s_cbranch_execz .LBB4_7
; %bb.25:                               ;   in Loop: Header=BB4_8 Depth=1
	v_add_nc_u32_e32 v0, s65, v41
	s_delay_alu instid0(VALU_DEP_1) | instskip(SKIP_1) | instid1(VALU_DEP_2)
	v_ashrrev_i32_e32 v6, 31, v0
	v_add_co_u32 v5, vcc_lo, s6, v0
	v_add_co_ci_u32_e32 v6, vcc_lo, s7, v6, vcc_lo
	global_store_b32 v[5:6], v44, off
	s_branch .LBB4_7
.LBB4_26:
	s_endpgm
.LBB4_27:
                                        ; implicit-def: $sgpr2_sgpr3
	s_branch .LBB4_4
	.section	.rodata,"a",@progbits
	.p2align	6, 0x0
	.amdhsa_kernel _ZN2at6native12_GLOBAL__N_143distribution_elementwise_grid_stride_kernelIfLi4EZNS0_9templates4cuda20normal_and_transformIffPNS_17CUDAGeneratorImplEZZZNS4_17log_normal_kernelIS7_EEvRNS_18TensorIteratorBaseEddT_ENKUlvE_clEvENKUlvE0_clEvEUlfE_EEvSA_T1_T2_EUlP25hiprandStatePhilox4_32_10E_ZNS1_27distribution_nullary_kernelIff15HIP_vector_typeIdLj2EES7_SJ_SE_EEvSA_SG_RKT3_T4_EUlifE_EEvlNS_15PhiloxCudaStateESF_SG_
		.amdhsa_group_segment_fixed_size 0
		.amdhsa_private_segment_fixed_size 0
		.amdhsa_kernarg_size 328
		.amdhsa_user_sgpr_count 15
		.amdhsa_user_sgpr_dispatch_ptr 0
		.amdhsa_user_sgpr_queue_ptr 0
		.amdhsa_user_sgpr_kernarg_segment_ptr 1
		.amdhsa_user_sgpr_dispatch_id 0
		.amdhsa_user_sgpr_private_segment_size 0
		.amdhsa_wavefront_size32 1
		.amdhsa_uses_dynamic_stack 0
		.amdhsa_enable_private_segment 0
		.amdhsa_system_sgpr_workgroup_id_x 1
		.amdhsa_system_sgpr_workgroup_id_y 0
		.amdhsa_system_sgpr_workgroup_id_z 0
		.amdhsa_system_sgpr_workgroup_info 0
		.amdhsa_system_vgpr_workitem_id 0
		.amdhsa_next_free_vgpr 61
		.amdhsa_next_free_sgpr 66
		.amdhsa_reserve_vcc 1
		.amdhsa_float_round_mode_32 0
		.amdhsa_float_round_mode_16_64 0
		.amdhsa_float_denorm_mode_32 3
		.amdhsa_float_denorm_mode_16_64 3
		.amdhsa_dx10_clamp 1
		.amdhsa_ieee_mode 1
		.amdhsa_fp16_overflow 0
		.amdhsa_workgroup_processor_mode 1
		.amdhsa_memory_ordered 1
		.amdhsa_forward_progress 0
		.amdhsa_shared_vgpr_count 0
		.amdhsa_exception_fp_ieee_invalid_op 0
		.amdhsa_exception_fp_denorm_src 0
		.amdhsa_exception_fp_ieee_div_zero 0
		.amdhsa_exception_fp_ieee_overflow 0
		.amdhsa_exception_fp_ieee_underflow 0
		.amdhsa_exception_fp_ieee_inexact 0
		.amdhsa_exception_int_div_zero 0
	.end_amdhsa_kernel
	.section	.text._ZN2at6native12_GLOBAL__N_143distribution_elementwise_grid_stride_kernelIfLi4EZNS0_9templates4cuda20normal_and_transformIffPNS_17CUDAGeneratorImplEZZZNS4_17log_normal_kernelIS7_EEvRNS_18TensorIteratorBaseEddT_ENKUlvE_clEvENKUlvE0_clEvEUlfE_EEvSA_T1_T2_EUlP25hiprandStatePhilox4_32_10E_ZNS1_27distribution_nullary_kernelIff15HIP_vector_typeIdLj2EES7_SJ_SE_EEvSA_SG_RKT3_T4_EUlifE_EEvlNS_15PhiloxCudaStateESF_SG_,"axG",@progbits,_ZN2at6native12_GLOBAL__N_143distribution_elementwise_grid_stride_kernelIfLi4EZNS0_9templates4cuda20normal_and_transformIffPNS_17CUDAGeneratorImplEZZZNS4_17log_normal_kernelIS7_EEvRNS_18TensorIteratorBaseEddT_ENKUlvE_clEvENKUlvE0_clEvEUlfE_EEvSA_T1_T2_EUlP25hiprandStatePhilox4_32_10E_ZNS1_27distribution_nullary_kernelIff15HIP_vector_typeIdLj2EES7_SJ_SE_EEvSA_SG_RKT3_T4_EUlifE_EEvlNS_15PhiloxCudaStateESF_SG_,comdat
.Lfunc_end4:
	.size	_ZN2at6native12_GLOBAL__N_143distribution_elementwise_grid_stride_kernelIfLi4EZNS0_9templates4cuda20normal_and_transformIffPNS_17CUDAGeneratorImplEZZZNS4_17log_normal_kernelIS7_EEvRNS_18TensorIteratorBaseEddT_ENKUlvE_clEvENKUlvE0_clEvEUlfE_EEvSA_T1_T2_EUlP25hiprandStatePhilox4_32_10E_ZNS1_27distribution_nullary_kernelIff15HIP_vector_typeIdLj2EES7_SJ_SE_EEvSA_SG_RKT3_T4_EUlifE_EEvlNS_15PhiloxCudaStateESF_SG_, .Lfunc_end4-_ZN2at6native12_GLOBAL__N_143distribution_elementwise_grid_stride_kernelIfLi4EZNS0_9templates4cuda20normal_and_transformIffPNS_17CUDAGeneratorImplEZZZNS4_17log_normal_kernelIS7_EEvRNS_18TensorIteratorBaseEddT_ENKUlvE_clEvENKUlvE0_clEvEUlfE_EEvSA_T1_T2_EUlP25hiprandStatePhilox4_32_10E_ZNS1_27distribution_nullary_kernelIff15HIP_vector_typeIdLj2EES7_SJ_SE_EEvSA_SG_RKT3_T4_EUlifE_EEvlNS_15PhiloxCudaStateESF_SG_
                                        ; -- End function
	.section	.AMDGPU.csdata,"",@progbits
; Kernel info:
; codeLenInByte = 4936
; NumSgprs: 68
; NumVgprs: 61
; ScratchSize: 0
; MemoryBound: 0
; FloatMode: 240
; IeeeMode: 1
; LDSByteSize: 0 bytes/workgroup (compile time only)
; SGPRBlocks: 8
; VGPRBlocks: 7
; NumSGPRsForWavesPerEU: 68
; NumVGPRsForWavesPerEU: 61
; Occupancy: 16
; WaveLimiterHint : 0
; COMPUTE_PGM_RSRC2:SCRATCH_EN: 0
; COMPUTE_PGM_RSRC2:USER_SGPR: 15
; COMPUTE_PGM_RSRC2:TRAP_HANDLER: 0
; COMPUTE_PGM_RSRC2:TGID_X_EN: 1
; COMPUTE_PGM_RSRC2:TGID_Y_EN: 0
; COMPUTE_PGM_RSRC2:TGID_Z_EN: 0
; COMPUTE_PGM_RSRC2:TIDIG_COMP_CNT: 0
	.section	.text._ZN2at6native12_GLOBAL__N_143distribution_elementwise_grid_stride_kernelIfLi4EZNS0_9templates4cuda20normal_and_transformIffPNS_17CUDAGeneratorImplEZZZNS4_17log_normal_kernelIS7_EEvRNS_18TensorIteratorBaseEddT_ENKUlvE_clEvENKUlvE0_clEvEUlfE_EEvSA_T1_T2_EUlP25hiprandStatePhilox4_32_10E_ZNS1_27distribution_nullary_kernelIff15HIP_vector_typeIdLj2EES7_SJ_SE_EEvSA_SG_RKT3_T4_EUlifE0_EEvlNS_15PhiloxCudaStateESF_SG_,"axG",@progbits,_ZN2at6native12_GLOBAL__N_143distribution_elementwise_grid_stride_kernelIfLi4EZNS0_9templates4cuda20normal_and_transformIffPNS_17CUDAGeneratorImplEZZZNS4_17log_normal_kernelIS7_EEvRNS_18TensorIteratorBaseEddT_ENKUlvE_clEvENKUlvE0_clEvEUlfE_EEvSA_T1_T2_EUlP25hiprandStatePhilox4_32_10E_ZNS1_27distribution_nullary_kernelIff15HIP_vector_typeIdLj2EES7_SJ_SE_EEvSA_SG_RKT3_T4_EUlifE0_EEvlNS_15PhiloxCudaStateESF_SG_,comdat
	.globl	_ZN2at6native12_GLOBAL__N_143distribution_elementwise_grid_stride_kernelIfLi4EZNS0_9templates4cuda20normal_and_transformIffPNS_17CUDAGeneratorImplEZZZNS4_17log_normal_kernelIS7_EEvRNS_18TensorIteratorBaseEddT_ENKUlvE_clEvENKUlvE0_clEvEUlfE_EEvSA_T1_T2_EUlP25hiprandStatePhilox4_32_10E_ZNS1_27distribution_nullary_kernelIff15HIP_vector_typeIdLj2EES7_SJ_SE_EEvSA_SG_RKT3_T4_EUlifE0_EEvlNS_15PhiloxCudaStateESF_SG_ ; -- Begin function _ZN2at6native12_GLOBAL__N_143distribution_elementwise_grid_stride_kernelIfLi4EZNS0_9templates4cuda20normal_and_transformIffPNS_17CUDAGeneratorImplEZZZNS4_17log_normal_kernelIS7_EEvRNS_18TensorIteratorBaseEddT_ENKUlvE_clEvENKUlvE0_clEvEUlfE_EEvSA_T1_T2_EUlP25hiprandStatePhilox4_32_10E_ZNS1_27distribution_nullary_kernelIff15HIP_vector_typeIdLj2EES7_SJ_SE_EEvSA_SG_RKT3_T4_EUlifE0_EEvlNS_15PhiloxCudaStateESF_SG_
	.p2align	8
	.type	_ZN2at6native12_GLOBAL__N_143distribution_elementwise_grid_stride_kernelIfLi4EZNS0_9templates4cuda20normal_and_transformIffPNS_17CUDAGeneratorImplEZZZNS4_17log_normal_kernelIS7_EEvRNS_18TensorIteratorBaseEddT_ENKUlvE_clEvENKUlvE0_clEvEUlfE_EEvSA_T1_T2_EUlP25hiprandStatePhilox4_32_10E_ZNS1_27distribution_nullary_kernelIff15HIP_vector_typeIdLj2EES7_SJ_SE_EEvSA_SG_RKT3_T4_EUlifE0_EEvlNS_15PhiloxCudaStateESF_SG_,@function
_ZN2at6native12_GLOBAL__N_143distribution_elementwise_grid_stride_kernelIfLi4EZNS0_9templates4cuda20normal_and_transformIffPNS_17CUDAGeneratorImplEZZZNS4_17log_normal_kernelIS7_EEvRNS_18TensorIteratorBaseEddT_ENKUlvE_clEvENKUlvE0_clEvEUlfE_EEvSA_T1_T2_EUlP25hiprandStatePhilox4_32_10E_ZNS1_27distribution_nullary_kernelIff15HIP_vector_typeIdLj2EES7_SJ_SE_EEvSA_SG_RKT3_T4_EUlifE0_EEvlNS_15PhiloxCudaStateESF_SG_: ; @_ZN2at6native12_GLOBAL__N_143distribution_elementwise_grid_stride_kernelIfLi4EZNS0_9templates4cuda20normal_and_transformIffPNS_17CUDAGeneratorImplEZZZNS4_17log_normal_kernelIS7_EEvRNS_18TensorIteratorBaseEddT_ENKUlvE_clEvENKUlvE0_clEvEUlfE_EEvSA_T1_T2_EUlP25hiprandStatePhilox4_32_10E_ZNS1_27distribution_nullary_kernelIff15HIP_vector_typeIdLj2EES7_SJ_SE_EEvSA_SG_RKT3_T4_EUlifE0_EEvlNS_15PhiloxCudaStateESF_SG_
; %bb.0:
	s_clause 0x2
	s_load_b64 s[4:5], s[0:1], 0x10
	s_load_b128 s[16:19], s[0:1], 0x0
	s_load_b32 s2, s[0:1], 0x20
	s_waitcnt lgkmcnt(0)
	v_dual_mov_b32 v2, s4 :: v_dual_mov_b32 v3, s5
	v_dual_mov_b32 v10, s18 :: v_dual_mov_b32 v11, s19
	s_bitcmp0_b32 s2, 0
	s_mov_b32 s2, 0
	s_cbranch_scc1 .LBB5_2
; %bb.1:
	v_dual_mov_b32 v1, s4 :: v_dual_mov_b32 v2, s5
	v_dual_mov_b32 v4, s18 :: v_dual_mov_b32 v5, s19
	s_load_b64 s[4:5], s[0:1], 0x18
	flat_load_b64 v[2:3], v[1:2]
	flat_load_b64 v[10:11], v[4:5]
	s_waitcnt vmcnt(1) lgkmcnt(0)
	v_add_co_u32 v2, vcc_lo, v2, s4
	v_add_co_ci_u32_e32 v3, vcc_lo, s5, v3, vcc_lo
.LBB5_2:
	s_clause 0x1
	s_load_b32 s3, s[0:1], 0x154
	s_load_b32 s4, s[0:1], 0x148
	s_waitcnt lgkmcnt(0)
	s_and_b32 s5, s3, 0xffff
	s_add_u32 s6, s16, -1
	s_mul_i32 s33, s4, s5
	s_addc_u32 s3, s17, -1
	s_lshl_b32 s78, s33, 2
	s_cmp_lg_u64 s[2:3], 0
	s_cbranch_scc0 .LBB5_79
; %bb.3:
	v_cvt_f32_ubyte0_e32 v1, 0
	v_cvt_f32_u32_e32 v4, s78
	s_sub_u32 s8, 0, s78
	s_subb_u32 s9, 0, 0
	s_delay_alu instid0(VALU_DEP_1) | instskip(NEXT) | instid1(VALU_DEP_1)
	v_fmamk_f32 v1, v1, 0x4f800000, v4
	v_rcp_f32_e32 v1, v1
	s_waitcnt_depctr 0xfff
	v_mul_f32_e32 v1, 0x5f7ffffc, v1
	s_delay_alu instid0(VALU_DEP_1) | instskip(NEXT) | instid1(VALU_DEP_1)
	v_mul_f32_e32 v4, 0x2f800000, v1
	v_trunc_f32_e32 v4, v4
	s_delay_alu instid0(VALU_DEP_1) | instskip(SKIP_1) | instid1(VALU_DEP_2)
	v_fmamk_f32 v1, v4, 0xcf800000, v1
	v_cvt_u32_f32_e32 v4, v4
	v_cvt_u32_f32_e32 v1, v1
	s_delay_alu instid0(VALU_DEP_2) | instskip(NEXT) | instid1(VALU_DEP_2)
	v_readfirstlane_b32 s2, v4
	v_readfirstlane_b32 s7, v1
	s_delay_alu instid0(VALU_DEP_2) | instskip(NEXT) | instid1(VALU_DEP_1)
	s_mul_i32 s10, s8, s2
	s_mul_hi_u32 s12, s8, s7
	s_mul_i32 s11, s9, s7
	s_add_i32 s10, s12, s10
	s_mul_i32 s13, s8, s7
	s_add_i32 s10, s10, s11
	s_mul_hi_u32 s12, s7, s13
	s_mul_hi_u32 s14, s2, s13
	s_mul_i32 s11, s2, s13
	s_mul_hi_u32 s13, s7, s10
	s_mul_i32 s7, s7, s10
	s_mul_hi_u32 s18, s2, s10
	s_add_u32 s7, s12, s7
	s_addc_u32 s12, 0, s13
	s_add_u32 s7, s7, s11
	s_mul_i32 s10, s2, s10
	s_addc_u32 s7, s12, s14
	s_addc_u32 s11, s18, 0
	s_add_u32 s7, s7, s10
	s_addc_u32 s10, 0, s11
	v_add_co_u32 v1, s7, v1, s7
	s_delay_alu instid0(VALU_DEP_1) | instskip(SKIP_1) | instid1(VALU_DEP_1)
	s_cmp_lg_u32 s7, 0
	s_addc_u32 s2, s2, s10
	v_readfirstlane_b32 s7, v1
	s_mul_i32 s10, s8, s2
	s_delay_alu instid0(VALU_DEP_1)
	s_mul_hi_u32 s11, s8, s7
	s_mul_i32 s9, s9, s7
	s_add_i32 s10, s11, s10
	s_mul_i32 s8, s8, s7
	s_add_i32 s10, s10, s9
	s_mul_hi_u32 s11, s2, s8
	s_mul_i32 s12, s2, s8
	s_mul_hi_u32 s8, s7, s8
	s_mul_hi_u32 s13, s7, s10
	s_mul_i32 s7, s7, s10
	s_mul_hi_u32 s9, s2, s10
	s_add_u32 s7, s8, s7
	s_addc_u32 s8, 0, s13
	s_add_u32 s7, s7, s12
	s_mul_i32 s10, s2, s10
	s_addc_u32 s7, s8, s11
	s_addc_u32 s8, s9, 0
	s_add_u32 s7, s7, s10
	s_addc_u32 s8, 0, s8
	v_add_co_u32 v1, s7, v1, s7
	s_delay_alu instid0(VALU_DEP_1) | instskip(SKIP_2) | instid1(VALU_DEP_1)
	s_cmp_lg_u32 s7, 0
	s_addc_u32 s7, s2, s8
	s_ashr_i32 s8, s3, 31
	v_readfirstlane_b32 s10, v1
	s_add_u32 s2, s6, s8
	s_mov_b32 s9, s8
	s_addc_u32 s3, s3, s8
	s_delay_alu instid0(SALU_CYCLE_1) | instskip(NEXT) | instid1(SALU_CYCLE_1)
	s_xor_b64 s[2:3], s[2:3], s[8:9]
	s_mul_i32 s12, s2, s7
	s_mul_hi_u32 s13, s2, s10
	s_mul_hi_u32 s11, s2, s7
	;; [unrolled: 1-line block ×3, first 2 shown]
	s_mul_i32 s10, s3, s10
	s_add_u32 s12, s13, s12
	s_addc_u32 s11, 0, s11
	s_mul_hi_u32 s14, s3, s7
	s_add_u32 s10, s12, s10
	s_mul_i32 s7, s3, s7
	s_addc_u32 s10, s11, s18
	s_addc_u32 s11, s14, 0
	s_add_u32 s7, s10, s7
	s_addc_u32 s10, 0, s11
	s_mul_i32 s12, s78, s7
	s_add_u32 s11, s7, 1
	v_sub_co_u32 v1, s2, s2, s12
	s_mul_hi_u32 s12, s78, s7
	s_addc_u32 s13, s10, 0
	s_mul_i32 s14, s78, s10
	s_delay_alu instid0(VALU_DEP_1)
	v_sub_co_u32 v4, s18, v1, s78
	s_add_u32 s19, s7, 2
	s_addc_u32 s20, s10, 0
	s_add_i32 s12, s12, s14
	s_cmp_lg_u32 s2, 0
	v_readfirstlane_b32 s2, v4
	s_subb_u32 s3, s3, s12
	s_cmp_lg_u32 s18, 0
	s_subb_u32 s12, s3, 0
	s_delay_alu instid0(VALU_DEP_1) | instskip(SKIP_4) | instid1(SALU_CYCLE_1)
	s_cmp_ge_u32 s2, s78
	s_cselect_b32 s2, -1, 0
	s_cmp_eq_u32 s12, 0
	v_readfirstlane_b32 s12, v1
	s_cselect_b32 s2, s2, -1
	s_cmp_lg_u32 s2, 0
	s_cselect_b32 s2, s19, s11
	s_cselect_b32 s11, s20, s13
	s_cmp_ge_u32 s12, s78
	s_cselect_b32 s12, -1, 0
	s_cmp_eq_u32 s3, 0
	s_cselect_b32 s3, s12, -1
	s_delay_alu instid0(SALU_CYCLE_1) | instskip(SKIP_2) | instid1(SALU_CYCLE_1)
	s_cmp_lg_u32 s3, 0
	s_cselect_b32 s3, s11, s10
	s_cselect_b32 s2, s2, s7
	s_xor_b64 s[2:3], s[2:3], s[8:9]
	s_delay_alu instid0(SALU_CYCLE_1)
	s_sub_u32 s2, s2, s8
	s_subb_u32 s3, s3, s8
	s_cbranch_execnz .LBB5_5
.LBB5_4:
	v_cvt_f32_u32_e32 v1, s78
	s_sub_i32 s3, 0, s78
	s_delay_alu instid0(VALU_DEP_1) | instskip(SKIP_2) | instid1(VALU_DEP_1)
	v_rcp_iflag_f32_e32 v1, v1
	s_waitcnt_depctr 0xfff
	v_mul_f32_e32 v1, 0x4f7ffffe, v1
	v_cvt_u32_f32_e32 v1, v1
	s_delay_alu instid0(VALU_DEP_1) | instskip(NEXT) | instid1(VALU_DEP_1)
	v_readfirstlane_b32 s2, v1
	s_mul_i32 s3, s3, s2
	s_delay_alu instid0(SALU_CYCLE_1) | instskip(NEXT) | instid1(SALU_CYCLE_1)
	s_mul_hi_u32 s3, s2, s3
	s_add_i32 s2, s2, s3
	s_delay_alu instid0(SALU_CYCLE_1) | instskip(NEXT) | instid1(SALU_CYCLE_1)
	s_mul_hi_u32 s2, s6, s2
	s_mul_i32 s3, s2, s78
	s_delay_alu instid0(SALU_CYCLE_1)
	s_sub_i32 s3, s6, s3
	s_add_i32 s6, s2, 1
	s_sub_i32 s7, s3, s78
	s_cmp_ge_u32 s3, s78
	s_cselect_b32 s2, s6, s2
	s_cselect_b32 s3, s7, s3
	s_add_i32 s6, s2, 1
	s_cmp_ge_u32 s3, s78
	s_mov_b32 s3, 0
	s_cselect_b32 s2, s6, s2
.LBB5_5:
	v_mov_b32_e32 v1, 0
	s_add_u32 s2, s2, 1
	s_addc_u32 s3, s3, 0
	s_mul_hi_u32 s6, s33, s2
	s_mul_i32 s3, s33, s3
	v_mad_u64_u32 v[12:13], null, s5, s15, v[0:1]
	s_mul_hi_u32 s4, s4, s5
	s_add_i32 s3, s6, s3
	s_mul_i32 s4, s4, s2
	s_mul_i32 s2, s33, s2
	s_add_i32 s3, s3, s4
	s_delay_alu instid0(SALU_CYCLE_1)
	s_lshl_b64 s[18:19], s[2:3], 2
	s_mov_b32 s2, exec_lo
	v_cmpx_gt_i64_e64 s[18:19], v[12:13]
	s_cbranch_execz .LBB5_78
; %bb.6:
	v_alignbit_b32 v19, v3, v2, 2
	v_mad_u64_u32 v[6:7], null, 0xcd9e8d57, v12, 0
	v_lshrrev_b32_e32 v20, 2, v3
	s_waitcnt vmcnt(0)
	v_dual_mov_b32 v14, v11 :: v_dual_and_b32 v21, 3, v2
	v_mad_u64_u32 v[4:5], null, 0xd2511f53, v19, 0
	v_add_co_u32 v23, null, 0x9e3779b9, v10
	s_delay_alu instid0(VALU_DEP_3) | instskip(SKIP_1) | instid1(VALU_DEP_4)
	v_add_co_u32 v22, null, 0xbb67ae85, v14
	v_add_co_u32 v26, null, 0x3c6ef372, v10
	v_xor_b32_e32 v0, v5, v11
	v_xor3_b32 v5, v10, v7, v20
	v_add_co_u32 v27, null, 0x76cf5d0a, v14
	v_add_co_u32 v30, null, 0xdaa66d2b, v10
	s_delay_alu instid0(VALU_DEP_4) | instskip(NEXT) | instid1(VALU_DEP_4)
	v_xor_b32_e32 v0, v0, v13
	v_mad_u64_u32 v[2:3], null, 0xd2511f53, v5, 0
	v_add_co_u32 v31, null, 0x32370b8f, v14
	s_delay_alu instid0(VALU_DEP_3) | instskip(SKIP_1) | instid1(VALU_DEP_4)
	v_mad_u64_u32 v[7:8], null, 0xcd9e8d57, v0, 0
	v_add_co_u32 v32, null, 0x78dde6e4, v10
	v_xor3_b32 v0, v22, v3, v4
	v_add_co_u32 v35, null, 0xed9eba14, v14
	v_add_co_u32 v29, null, 0x1715609d, v10
	v_xor3_b32 v8, v23, v8, v6
	s_delay_alu instid0(VALU_DEP_4) | instskip(SKIP_1) | instid1(VALU_DEP_3)
	v_mad_u64_u32 v[3:4], null, 0xcd9e8d57, v0, 0
	v_add_co_u32 v36, null, 0xa9066899, v14
	v_mad_u64_u32 v[5:6], null, 0xd2511f53, v8, 0
	v_add_co_u32 v33, null, 0xb54cda56, v10
	s_delay_alu instid0(VALU_DEP_4) | instskip(SKIP_3) | instid1(VALU_DEP_4)
	v_xor3_b32 v0, v26, v4, v7
	v_add_co_u32 v38, null, 0x646e171e, v14
	v_mov_b32_e32 v15, 0x3fb8aa3b
	v_xor3_b32 v2, v27, v6, v2
	v_mad_u64_u32 v[6:7], null, 0xd2511f53, v0, 0
	s_load_b256 s[4:11], s[0:1], 0x30
	v_add_co_u32 v28, null, 0x5384540f, v10
	s_delay_alu instid0(VALU_DEP_3) | instskip(SKIP_1) | instid1(VALU_DEP_4)
	v_mad_u64_u32 v[8:9], null, 0xcd9e8d57, v2, 0
	v_rndne_f32_e32 v16, 0x7fc00000
	v_xor3_b32 v0, v31, v7, v5
	v_add_co_u32 v39, null, 0x1fd5c5a3, v14
	v_add_co_u32 v37, null, 0xdb3d7428, v14
	v_xor3_b32 v7, v30, v9, v3
	s_delay_alu instid0(VALU_DEP_4) | instskip(SKIP_2) | instid1(VALU_DEP_4)
	v_mad_u64_u32 v[2:3], null, 0xcd9e8d57, v0, 0
	v_sub_f32_e32 v14, 0x7fc00000, v16
	v_cvt_i32_f32_e32 v18, v16
	v_mad_u64_u32 v[4:5], null, 0xd2511f53, v7, 0
	v_add_co_u32 v34, null, 0xf1bbcdc8, v10
	v_xor3_b32 v0, v32, v3, v8
	s_add_u32 s20, s0, 48
	s_clause 0x1
	s_load_b64 s[22:23], s[0:1], 0xf4
	s_load_b128 s[12:15], s[0:1], 0x138
	s_addc_u32 s21, s1, 0
	v_xor3_b32 v3, v35, v5, v6
	v_mad_u64_u32 v[5:6], null, 0xd2511f53, v0, 0
	s_waitcnt lgkmcnt(0)
	s_add_i32 s2, s4, -1
	v_dual_mov_b32 v41, v12 :: v_dual_add_nc_u32 v24, 0x8ff34781, v10
	v_mad_u64_u32 v[7:8], null, 0xcd9e8d57, v3, 0
	s_cmp_gt_u32 s2, 1
	s_delay_alu instid0(VALU_DEP_3) | instskip(SKIP_4) | instid1(VALU_DEP_3)
	v_xor3_b32 v0, v36, v6, v4
	s_cselect_b32 s11, -1, 0
	s_cmp_lg_u32 s4, 0
	v_mov_b32_e32 v42, v13
	s_cselect_b32 s80, -1, 0
	v_xor3_b32 v4, v29, v8, v2
	v_mad_u64_u32 v[2:3], null, 0xcd9e8d57, v0, 0
	v_fmaak_f32 v0, s0, v15, 0xffc00000
	s_add_u32 s26, s0, 0xf4
	s_delay_alu instid0(VALU_DEP_3) | instskip(SKIP_1) | instid1(VALU_DEP_2)
	v_mad_u64_u32 v[8:9], null, 0xd2511f53, v4, 0
	s_addc_u32 s27, s1, 0
	v_fmac_f32_e64 v0, 0x32a5705f, s0
	s_delay_alu instid0(VALU_DEP_4)
	v_xor3_b32 v6, v33, v3, v7
	v_add_nc_u32_e32 v25, 0x96a522ad, v11
	s_min_u32 s0, s2, 15
	s_cmp_gt_u32 s4, 1
	v_add_f32_e32 v0, v14, v0
	v_xor3_b32 v7, v38, v9, v5
	v_mad_u64_u32 v[3:4], null, 0xd2511f53, v6, 0
	s_cselect_b32 s4, -1, 0
	s_delay_alu instid0(VALU_DEP_3) | instskip(NEXT) | instid1(VALU_DEP_2)
	v_exp_f32_e32 v0, v0
	v_mad_u64_u32 v[5:6], null, 0xcd9e8d57, v7, 0
	s_add_i32 s0, s0, 1
	s_lshl_b32 s81, s33, 1
	s_delay_alu instid0(VALU_DEP_2) | instskip(SKIP_3) | instid1(VALU_DEP_2)
	v_xor3_b32 v4, v39, v4, v8
	s_and_b32 s82, s0, 3
	s_cmp_lg_u32 s2, 2
	s_mov_b32 s24, 0x55555555
	v_xor3_b32 v2, v28, v6, v2
	v_mad_u64_u32 v[14:15], null, 0xcd9e8d57, v4, 0
	s_waitcnt_depctr 0xfff
	v_ldexp_f32 v40, v0, v18
	s_cselect_b32 s83, -1, 0
	v_mad_u64_u32 v[16:17], null, 0xd2511f53, v2, 0
	s_and_b32 s84, s0, 28
	s_cmp_lg_u32 s82, 0
	v_xor3_b32 v4, v34, v15, v5
	s_mov_b32 s28, 0x6b47b09a
	s_mov_b32 s30, 0xbf559e2b
	;; [unrolled: 1-line block ×3, first 2 shown]
	s_delay_alu instid0(VALU_DEP_2) | instskip(SKIP_3) | instid1(VALU_DEP_2)
	v_xor3_b32 v5, v37, v17, v3
	v_mad_u64_u32 v[2:3], null, 0xd2511f53, v4, 0
	s_mov_b32 s36, 0x16291751
	s_mov_b32 s38, 0x9b27acf1
	v_mad_u64_u32 v[6:7], null, 0xcd9e8d57, v5, 0
	s_mov_b32 s40, 0x998ef7b6
	s_mov_b32 s42, 0xfefa39ef
	s_delay_alu instid0(VALU_DEP_2) | instskip(SKIP_3) | instid1(VALU_DEP_2)
	v_mov_b32_e32 v8, v2
	s_mov_b32 s44, 0x3b39803f
	s_mov_b32 s46, 0x6fdffd2b
	s_mov_b32 s48, 0xf99eb0bb
	v_xor3_b32 v5, v7, v14, v24
	v_xor3_b32 v7, v3, v16, v25
	s_mov_b32 s50, 0xd5f14825
	s_mov_b32 s52, 0xcdfe9424
	;; [unrolled: 1-line block ×36, first 2 shown]
	s_mul_i32 s85, s33, 3
	s_cselect_b32 s86, -1, 0
	s_mov_b32 s74, 0x55555780
	s_branch .LBB5_9
.LBB5_7:                                ;   in Loop: Header=BB5_9 Depth=1
	global_store_b32 v0, v40, s[12:13]
.LBB5_8:                                ;   in Loop: Header=BB5_9 Depth=1
	s_or_b32 exec_lo, exec_lo, s75
	v_add_co_u32 v12, vcc_lo, v12, s78
	v_add_co_ci_u32_e32 v13, vcc_lo, 0, v13, vcc_lo
	v_mov_b32_e32 v5, v14
	s_waitcnt_vscnt null, 0x0
	s_barrier
	s_delay_alu instid0(VALU_DEP_2)
	v_cmp_le_i64_e32 vcc_lo, s[18:19], v[12:13]
	buffer_gl0_inv
	v_mov_b32_e32 v8, v5
	v_dual_mov_b32 v7, v4 :: v_dual_mov_b32 v6, v3
	v_mov_b32_e32 v5, v2
	s_or_b32 s79, vcc_lo, s79
	s_delay_alu instid0(SALU_CYCLE_1)
	s_and_not1_b32 exec_lo, exec_lo, s79
	s_cbranch_execz .LBB5_78
.LBB5_9:                                ; =>This Loop Header: Depth=1
                                        ;     Child Loop BB5_24 Depth 2
                                        ;     Child Loop BB5_29 Depth 2
	;; [unrolled: 1-line block ×8, first 2 shown]
	v_add_co_u32 v19, vcc_lo, v19, 1
	s_delay_alu instid0(VALU_DEP_1) | instskip(SKIP_1) | instid1(VALU_DEP_3)
	v_cndmask_b32_e64 v0, 0, 1, vcc_lo
	v_add_co_ci_u32_e32 v20, vcc_lo, 0, v20, vcc_lo
	v_mad_u64_u32 v[2:3], null, 0xd2511f53, v19, 0
	s_mov_b32 s0, exec_lo
	s_delay_alu instid0(VALU_DEP_2) | instskip(SKIP_1) | instid1(VALU_DEP_1)
	v_cmp_eq_u32_e32 vcc_lo, 0, v20
	v_cndmask_b32_e32 v0, 0, v0, vcc_lo
	v_add_nc_u32_e32 v41, v0, v41
	s_delay_alu instid0(VALU_DEP_1) | instskip(SKIP_2) | instid1(VALU_DEP_2)
	v_cmp_eq_u32_e32 vcc_lo, 0, v41
	v_cndmask_b32_e32 v0, 0, v0, vcc_lo
	v_mad_u64_u32 v[14:15], null, 0xcd9e8d57, v41, 0
	v_add_nc_u32_e32 v42, v0, v42
	v_xor_b32_e32 v0, v3, v11
	s_delay_alu instid0(VALU_DEP_3) | instskip(NEXT) | instid1(VALU_DEP_2)
	v_xor3_b32 v9, v15, v10, v20
	v_xor_b32_e32 v0, v42, v0
	s_delay_alu instid0(VALU_DEP_2) | instskip(NEXT) | instid1(VALU_DEP_2)
	v_mad_u64_u32 v[3:4], null, 0xd2511f53, v9, 0
	v_mad_u64_u32 v[15:16], null, 0xcd9e8d57, v0, 0
	s_delay_alu instid0(VALU_DEP_2) | instskip(NEXT) | instid1(VALU_DEP_2)
	v_xor3_b32 v0, v22, v4, v2
	v_xor3_b32 v2, v23, v16, v14
	s_delay_alu instid0(VALU_DEP_2) | instskip(NEXT) | instid1(VALU_DEP_2)
	v_mad_u64_u32 v[16:17], null, 0xcd9e8d57, v0, 0
	v_mad_u64_u32 v[43:44], null, 0xd2511f53, v2, 0
	s_delay_alu instid0(VALU_DEP_2) | instskip(NEXT) | instid1(VALU_DEP_2)
	v_xor3_b32 v0, v26, v17, v15
	v_xor3_b32 v4, v27, v44, v3
	s_delay_alu instid0(VALU_DEP_2) | instskip(NEXT) | instid1(VALU_DEP_2)
	v_mad_u64_u32 v[2:3], null, 0xd2511f53, v0, 0
	v_mad_u64_u32 v[14:15], null, 0xcd9e8d57, v4, 0
	s_delay_alu instid0(VALU_DEP_2) | instskip(NEXT) | instid1(VALU_DEP_2)
	v_xor3_b32 v0, v31, v3, v43
	v_xor3_b32 v9, v30, v15, v16
	s_delay_alu instid0(VALU_DEP_2) | instskip(NEXT) | instid1(VALU_DEP_2)
	v_mad_u64_u32 v[3:4], null, 0xcd9e8d57, v0, 0
	v_mad_u64_u32 v[15:16], null, 0xd2511f53, v9, 0
	s_delay_alu instid0(VALU_DEP_2) | instskip(NEXT) | instid1(VALU_DEP_2)
	v_xor3_b32 v0, v32, v4, v14
	v_xor3_b32 v2, v35, v16, v2
	s_delay_alu instid0(VALU_DEP_2) | instskip(NEXT) | instid1(VALU_DEP_2)
	v_mad_u64_u32 v[16:17], null, 0xd2511f53, v0, 0
	v_mad_u64_u32 v[43:44], null, 0xcd9e8d57, v2, 0
	s_delay_alu instid0(VALU_DEP_2) | instskip(NEXT) | instid1(VALU_DEP_2)
	v_xor3_b32 v0, v36, v17, v15
	v_xor3_b32 v4, v29, v44, v3
	s_delay_alu instid0(VALU_DEP_2) | instskip(NEXT) | instid1(VALU_DEP_2)
	v_mad_u64_u32 v[2:3], null, 0xcd9e8d57, v0, 0
	v_mad_u64_u32 v[14:15], null, 0xd2511f53, v4, 0
	s_delay_alu instid0(VALU_DEP_2) | instskip(NEXT) | instid1(VALU_DEP_2)
	v_xor3_b32 v0, v33, v3, v43
	v_xor3_b32 v9, v38, v15, v16
	s_delay_alu instid0(VALU_DEP_2) | instskip(NEXT) | instid1(VALU_DEP_2)
	v_mad_u64_u32 v[3:4], null, 0xd2511f53, v0, 0
	v_mad_u64_u32 v[15:16], null, 0xcd9e8d57, v9, 0
	s_delay_alu instid0(VALU_DEP_2) | instskip(NEXT) | instid1(VALU_DEP_2)
	v_xor3_b32 v0, v39, v4, v14
	v_xor3_b32 v2, v28, v16, v2
	s_delay_alu instid0(VALU_DEP_2) | instskip(NEXT) | instid1(VALU_DEP_2)
	v_mad_u64_u32 v[16:17], null, 0xcd9e8d57, v0, 0
	v_mad_u64_u32 v[43:44], null, 0xd2511f53, v2, 0
	s_delay_alu instid0(VALU_DEP_2) | instskip(NEXT) | instid1(VALU_DEP_2)
	v_xor3_b32 v0, v34, v17, v15
	v_xor3_b32 v2, v37, v44, v3
	s_delay_alu instid0(VALU_DEP_2) | instskip(NEXT) | instid1(VALU_DEP_2)
	v_mad_u64_u32 v[14:15], null, 0xd2511f53, v0, 0
	v_mad_u64_u32 v[3:4], null, 0xcd9e8d57, v2, 0
	s_delay_alu instid0(VALU_DEP_2) | instskip(NEXT) | instid1(VALU_DEP_2)
	v_xor3_b32 v9, v15, v43, v25
	v_xor3_b32 v2, v4, v16, v24
	s_delay_alu instid0(VALU_DEP_2)
	v_mov_b32_e32 v4, v9
	v_cmpx_lt_i32_e32 1, v21
	s_xor_b32 s0, exec_lo, s0
	s_cbranch_execz .LBB5_15
; %bb.10:                               ;   in Loop: Header=BB5_9 Depth=1
	s_mov_b32 s1, exec_lo
	v_cmpx_lt_i32_e32 2, v21
	s_xor_b32 s1, exec_lo, s1
; %bb.11:                               ;   in Loop: Header=BB5_9 Depth=1
	v_dual_mov_b32 v6, v8 :: v_dual_mov_b32 v7, v2
	v_mov_b32_e32 v8, v3
	s_delay_alu instid0(VALU_DEP_2) | instskip(NEXT) | instid1(VALU_DEP_3)
	v_mov_b32_e32 v5, v6
	v_mov_b32_e32 v6, v7
	s_delay_alu instid0(VALU_DEP_3)
	v_mov_b32_e32 v7, v8
	v_mov_b32_e32 v8, v9
; %bb.12:                               ;   in Loop: Header=BB5_9 Depth=1
	s_and_not1_saveexec_b32 s1, s1
; %bb.13:                               ;   in Loop: Header=BB5_9 Depth=1
	s_delay_alu instid0(VALU_DEP_1)
	v_dual_mov_b32 v5, v7 :: v_dual_mov_b32 v6, v8
	v_dual_mov_b32 v7, v2 :: v_dual_mov_b32 v8, v3
; %bb.14:                               ;   in Loop: Header=BB5_9 Depth=1
	s_or_b32 exec_lo, exec_lo, s1
.LBB5_15:                               ;   in Loop: Header=BB5_9 Depth=1
	s_and_not1_saveexec_b32 s0, s0
	s_cbranch_execz .LBB5_19
; %bb.16:                               ;   in Loop: Header=BB5_9 Depth=1
	s_mov_b32 s1, exec_lo
	v_cmpx_eq_u32_e32 1, v21
; %bb.17:                               ;   in Loop: Header=BB5_9 Depth=1
	v_dual_mov_b32 v5, v6 :: v_dual_mov_b32 v6, v7
	v_dual_mov_b32 v7, v8 :: v_dual_mov_b32 v8, v2
; %bb.18:                               ;   in Loop: Header=BB5_9 Depth=1
	s_or_b32 exec_lo, exec_lo, s1
.LBB5_19:                               ;   in Loop: Header=BB5_9 Depth=1
	s_delay_alu instid0(SALU_CYCLE_1) | instskip(NEXT) | instid1(VALU_DEP_2)
	s_or_b32 exec_lo, exec_lo, s0
	v_mov_b32_e32 v0, v6
	s_mov_b32 s75, s25
	s_delay_alu instid0(VALU_DEP_1) | instskip(NEXT) | instid1(VALU_DEP_1)
	v_lshlrev_b64 v[15:16], 21, v[0:1]
	v_cvt_f64_u32_e32 v[16:17], v16
	s_delay_alu instid0(VALU_DEP_2) | instskip(NEXT) | instid1(VALU_DEP_1)
	v_xor_b32_e32 v0, v15, v5
	v_cvt_f64_u32_e32 v[5:6], v0
	s_delay_alu instid0(VALU_DEP_3) | instskip(SKIP_1) | instid1(VALU_DEP_2)
	v_ldexp_f64 v[15:16], v[16:17], 32
	v_mov_b32_e32 v17, v1
	v_add_f64 v[5:6], v[15:16], v[5:6]
	s_delay_alu instid0(VALU_DEP_1) | instskip(NEXT) | instid1(VALU_DEP_1)
	v_fma_f64 v[5:6], 0x3ca00000, v[5:6], 0x3ca00000
	v_frexp_mant_f64_e32 v[15:16], v[5:6]
	v_frexp_exp_i32_f64_e32 v0, v[5:6]
	v_cmp_eq_f64_e64 s0, 0x7ff00000, v[5:6]
	s_delay_alu instid0(VALU_DEP_3) | instskip(SKIP_1) | instid1(VALU_DEP_4)
	v_cmp_gt_f64_e32 vcc_lo, s[24:25], v[15:16]
	v_cndmask_b32_e64 v18, 0x3ff00000, 2.0, vcc_lo
	v_subrev_co_ci_u32_e32 v0, vcc_lo, 0, v0, vcc_lo
	s_delay_alu instid0(VALU_DEP_2) | instskip(NEXT) | instid1(VALU_DEP_1)
	v_mul_f64 v[15:16], v[15:16], v[17:18]
	v_add_f64 v[17:18], v[15:16], 1.0
	v_add_f64 v[47:48], v[15:16], -1.0
	s_delay_alu instid0(VALU_DEP_2) | instskip(SKIP_1) | instid1(VALU_DEP_1)
	v_rcp_f64_e32 v[43:44], v[17:18]
	v_add_f64 v[49:50], v[17:18], -1.0
	v_add_f64 v[15:16], v[15:16], -v[49:50]
	s_waitcnt_depctr 0xfff
	v_fma_f64 v[45:46], -v[17:18], v[43:44], 1.0
	s_delay_alu instid0(VALU_DEP_1) | instskip(NEXT) | instid1(VALU_DEP_1)
	v_fma_f64 v[43:44], v[45:46], v[43:44], v[43:44]
	v_fma_f64 v[45:46], -v[17:18], v[43:44], 1.0
	s_delay_alu instid0(VALU_DEP_1) | instskip(NEXT) | instid1(VALU_DEP_1)
	v_fma_f64 v[43:44], v[45:46], v[43:44], v[43:44]
	v_mul_f64 v[45:46], v[47:48], v[43:44]
	s_delay_alu instid0(VALU_DEP_1) | instskip(NEXT) | instid1(VALU_DEP_1)
	v_mul_f64 v[51:52], v[17:18], v[45:46]
	v_fma_f64 v[17:18], v[45:46], v[17:18], -v[51:52]
	s_delay_alu instid0(VALU_DEP_1) | instskip(NEXT) | instid1(VALU_DEP_1)
	v_fma_f64 v[15:16], v[45:46], v[15:16], v[17:18]
	v_add_f64 v[17:18], v[51:52], v[15:16]
	s_delay_alu instid0(VALU_DEP_1) | instskip(SKIP_1) | instid1(VALU_DEP_2)
	v_add_f64 v[49:50], v[47:48], -v[17:18]
	v_add_f64 v[51:52], v[17:18], -v[51:52]
	;; [unrolled: 1-line block ×3, first 2 shown]
	s_delay_alu instid0(VALU_DEP_2) | instskip(NEXT) | instid1(VALU_DEP_2)
	v_add_f64 v[15:16], v[51:52], -v[15:16]
	v_add_f64 v[17:18], v[47:48], -v[17:18]
	s_delay_alu instid0(VALU_DEP_1) | instskip(NEXT) | instid1(VALU_DEP_1)
	v_add_f64 v[15:16], v[15:16], v[17:18]
	v_add_f64 v[15:16], v[49:50], v[15:16]
	s_delay_alu instid0(VALU_DEP_1) | instskip(NEXT) | instid1(VALU_DEP_1)
	v_mul_f64 v[15:16], v[43:44], v[15:16]
	v_add_f64 v[17:18], v[45:46], v[15:16]
	s_delay_alu instid0(VALU_DEP_1) | instskip(NEXT) | instid1(VALU_DEP_1)
	v_mul_f64 v[43:44], v[17:18], v[17:18]
	v_fma_f64 v[47:48], v[43:44], s[30:31], s[28:29]
	v_mul_f64 v[49:50], v[17:18], v[43:44]
	s_delay_alu instid0(VALU_DEP_2) | instskip(NEXT) | instid1(VALU_DEP_1)
	v_fma_f64 v[47:48], v[43:44], v[47:48], s[34:35]
	v_fma_f64 v[47:48], v[43:44], v[47:48], s[36:37]
	s_delay_alu instid0(VALU_DEP_1) | instskip(NEXT) | instid1(VALU_DEP_1)
	v_fma_f64 v[47:48], v[43:44], v[47:48], s[38:39]
	v_fma_f64 v[47:48], v[43:44], v[47:48], s[40:41]
	s_delay_alu instid0(VALU_DEP_1) | instskip(SKIP_3) | instid1(VALU_DEP_3)
	v_fma_f64 v[43:44], v[43:44], v[47:48], s[74:75]
	v_ldexp_f64 v[47:48], v[17:18], 1
	v_add_f64 v[17:18], v[17:18], -v[45:46]
	s_mov_b32 s75, exec_lo
	v_mul_f64 v[43:44], v[49:50], v[43:44]
	v_cvt_f64_i32_e32 v[49:50], v0
	s_delay_alu instid0(VALU_DEP_3) | instskip(SKIP_1) | instid1(VALU_DEP_1)
	v_add_f64 v[15:16], v[15:16], -v[17:18]
	v_mov_b32_e32 v0, v8
	v_lshlrev_b64 v[8:9], 21, v[0:1]
	s_delay_alu instid0(VALU_DEP_1) | instskip(NEXT) | instid1(VALU_DEP_1)
	v_xor_b32_e32 v0, v8, v7
	v_cvt_f64_u32_e32 v[7:8], v0
	v_add_f64 v[45:46], v[47:48], v[43:44]
	v_mul_f64 v[51:52], v[49:50], s[42:43]
	v_ldexp_f64 v[15:16], v[15:16], 1
	s_delay_alu instid0(VALU_DEP_3) | instskip(NEXT) | instid1(VALU_DEP_3)
	v_add_f64 v[17:18], v[45:46], -v[47:48]
	v_fma_f64 v[47:48], v[49:50], s[42:43], -v[51:52]
	s_delay_alu instid0(VALU_DEP_2) | instskip(NEXT) | instid1(VALU_DEP_2)
	v_add_f64 v[17:18], v[43:44], -v[17:18]
	v_fma_f64 v[43:44], v[49:50], s[44:45], v[47:48]
	s_delay_alu instid0(VALU_DEP_2) | instskip(NEXT) | instid1(VALU_DEP_2)
	v_add_f64 v[15:16], v[15:16], v[17:18]
	v_add_f64 v[17:18], v[51:52], v[43:44]
	s_delay_alu instid0(VALU_DEP_2) | instskip(NEXT) | instid1(VALU_DEP_2)
	v_add_f64 v[47:48], v[45:46], v[15:16]
	v_add_f64 v[51:52], v[17:18], -v[51:52]
	s_delay_alu instid0(VALU_DEP_2) | instskip(SKIP_1) | instid1(VALU_DEP_3)
	v_add_f64 v[49:50], v[17:18], v[47:48]
	v_add_f64 v[45:46], v[47:48], -v[45:46]
	v_add_f64 v[43:44], v[43:44], -v[51:52]
	s_delay_alu instid0(VALU_DEP_3) | instskip(NEXT) | instid1(VALU_DEP_3)
	v_add_f64 v[53:54], v[49:50], -v[17:18]
	v_add_f64 v[15:16], v[15:16], -v[45:46]
	s_delay_alu instid0(VALU_DEP_2) | instskip(SKIP_2) | instid1(VALU_DEP_4)
	v_add_f64 v[55:56], v[49:50], -v[53:54]
	v_add_f64 v[45:46], v[47:48], -v[53:54]
	v_cvt_f64_u32_e32 v[47:48], v9
	v_add_f64 v[51:52], v[43:44], v[15:16]
	s_delay_alu instid0(VALU_DEP_4) | instskip(NEXT) | instid1(VALU_DEP_1)
	v_add_f64 v[17:18], v[17:18], -v[55:56]
	v_add_f64 v[17:18], v[45:46], v[17:18]
	s_delay_alu instid0(VALU_DEP_4) | instskip(NEXT) | instid1(VALU_DEP_4)
	v_ldexp_f64 v[45:46], v[47:48], 32
	v_add_f64 v[47:48], v[51:52], -v[43:44]
	s_delay_alu instid0(VALU_DEP_3) | instskip(NEXT) | instid1(VALU_DEP_3)
	v_add_f64 v[17:18], v[51:52], v[17:18]
	v_add_f64 v[7:8], v[45:46], v[7:8]
	s_delay_alu instid0(VALU_DEP_3) | instskip(SKIP_1) | instid1(VALU_DEP_4)
	v_add_f64 v[45:46], v[51:52], -v[47:48]
	v_add_f64 v[15:16], v[15:16], -v[47:48]
	v_add_f64 v[51:52], v[49:50], v[17:18]
	s_delay_alu instid0(VALU_DEP_4) | instskip(NEXT) | instid1(VALU_DEP_4)
	v_fma_f64 v[8:9], 0x3cb00000, v[7:8], 0x3cb00000
	v_add_f64 v[43:44], v[43:44], -v[45:46]
	s_delay_alu instid0(VALU_DEP_3) | instskip(NEXT) | instid1(VALU_DEP_3)
	v_add_f64 v[45:46], v[51:52], -v[49:50]
	v_mul_f64 v[47:48], v[8:9], 0.5
	s_delay_alu instid0(VALU_DEP_3) | instskip(NEXT) | instid1(VALU_DEP_3)
	v_add_f64 v[15:16], v[15:16], v[43:44]
	v_add_f64 v[17:18], v[17:18], -v[45:46]
	s_delay_alu instid0(VALU_DEP_3) | instskip(SKIP_1) | instid1(VALU_DEP_3)
	v_fract_f64_e32 v[43:44], v[47:48]
	v_cmp_neq_f64_e32 vcc_lo, 0x7ff00000, v[47:48]
	v_add_f64 v[15:16], v[15:16], v[17:18]
	s_delay_alu instid0(VALU_DEP_3) | instskip(NEXT) | instid1(VALU_DEP_2)
	v_add_f64 v[17:18], v[43:44], v[43:44]
	v_add_f64 v[15:16], v[51:52], v[15:16]
	s_delay_alu instid0(VALU_DEP_2) | instskip(SKIP_1) | instid1(VALU_DEP_3)
	v_dual_cndmask_b32 v7, 0, v18 :: v_dual_cndmask_b32 v0, 0, v17
	v_cmp_lt_f64_e32 vcc_lo, 1.0, v[8:9]
	v_cndmask_b32_e64 v16, v16, v6, s0
	s_delay_alu instid0(VALU_DEP_4) | instskip(SKIP_2) | instid1(VALU_DEP_3)
	v_cndmask_b32_e64 v15, v15, v5, s0
	v_cmp_neq_f64_e64 s0, 0, v[5:6]
	v_dual_cndmask_b32 v6, v9, v7 :: v_dual_cndmask_b32 v5, v8, v0
	v_mul_f64 v[15:16], v[15:16], -2.0
	s_delay_alu instid0(VALU_DEP_2) | instskip(NEXT) | instid1(VALU_DEP_2)
	v_add_f64 v[17:18], v[5:6], v[5:6]
	v_cndmask_b32_e64 v16, 0x7ff00000, v16, s0
	s_delay_alu instid0(VALU_DEP_3) | instskip(SKIP_1) | instid1(VALU_DEP_2)
	v_cndmask_b32_e64 v15, 0, v15, s0
	v_cmp_lg_f64_e64 s0, 0x7ff00000, v[8:9]
	v_cmp_gt_f64_e32 vcc_lo, 0x10000000, v[15:16]
	v_cndmask_b32_e64 v0, 0, 1, vcc_lo
	v_cndmask_b32_e64 v7, 0, 0xffffff80, vcc_lo
	s_delay_alu instid0(VALU_DEP_2) | instskip(NEXT) | instid1(VALU_DEP_1)
	v_lshlrev_b32_e32 v0, 8, v0
	v_ldexp_f64 v[44:45], v[15:16], v0
	v_rndne_f64_e32 v[15:16], v[17:18]
	s_delay_alu instid0(VALU_DEP_2) | instskip(NEXT) | instid1(VALU_DEP_1)
	v_rsq_f64_e32 v[17:18], v[44:45]
	v_fma_f64 v[5:6], v[15:16], -0.5, v[5:6]
	v_cvt_i32_f64_e32 v0, v[15:16]
	v_cmp_class_f64_e64 vcc_lo, v[44:45], 0x260
	s_delay_alu instid0(VALU_DEP_3)
	v_mul_f64 v[48:49], v[5:6], v[5:6]
	s_waitcnt_depctr 0xfff
	v_mul_f64 v[46:47], v[44:45], v[17:18]
	v_mul_f64 v[17:18], v[17:18], 0.5
	v_lshlrev_b32_e32 v43, 30, v0
	v_fma_f64 v[52:53], v[48:49], s[48:49], s[46:47]
	v_fma_f64 v[54:55], v[48:49], s[62:63], s[60:61]
	s_delay_alu instid0(VALU_DEP_4) | instskip(SKIP_1) | instid1(VALU_DEP_4)
	v_fma_f64 v[50:51], -v[17:18], v[46:47], 0.5
	v_mul_f64 v[56:57], v[5:6], v[48:49]
	v_fma_f64 v[52:53], v[48:49], v[52:53], s[50:51]
	s_delay_alu instid0(VALU_DEP_4) | instskip(NEXT) | instid1(VALU_DEP_4)
	v_fma_f64 v[54:55], v[48:49], v[54:55], s[64:65]
	v_fma_f64 v[46:47], v[46:47], v[50:51], v[46:47]
	;; [unrolled: 1-line block ×3, first 2 shown]
	s_delay_alu instid0(VALU_DEP_4) | instskip(NEXT) | instid1(VALU_DEP_4)
	v_fma_f64 v[52:53], v[48:49], v[52:53], s[52:53]
	v_fma_f64 v[54:55], v[48:49], v[54:55], s[66:67]
	s_delay_alu instid0(VALU_DEP_4) | instskip(NEXT) | instid1(VALU_DEP_1)
	v_fma_f64 v[50:51], -v[46:47], v[46:47], v[44:45]
	v_fma_f64 v[46:47], v[50:51], v[17:18], v[46:47]
	s_delay_alu instid0(VALU_DEP_4) | instskip(NEXT) | instid1(VALU_DEP_4)
	v_fma_f64 v[50:51], v[48:49], v[52:53], s[54:55]
	v_fma_f64 v[52:53], v[48:49], v[54:55], s[68:69]
	s_delay_alu instid0(VALU_DEP_3) | instskip(NEXT) | instid1(VALU_DEP_3)
	v_fma_f64 v[54:55], -v[46:47], v[46:47], v[44:45]
	v_fma_f64 v[50:51], v[48:49], v[50:51], s[56:57]
	s_delay_alu instid0(VALU_DEP_3) | instskip(NEXT) | instid1(VALU_DEP_3)
	v_fma_f64 v[52:53], v[48:49], v[52:53], s[70:71]
	v_fma_f64 v[17:18], v[54:55], v[17:18], v[46:47]
	s_delay_alu instid0(VALU_DEP_3) | instskip(NEXT) | instid1(VALU_DEP_3)
	v_mul_f64 v[46:47], v[56:57], v[50:51]
	v_fma_f64 v[50:51], v[48:49], v[52:53], s[72:73]
	s_delay_alu instid0(VALU_DEP_3) | instskip(NEXT) | instid1(VALU_DEP_3)
	v_ldexp_f64 v[17:18], v[17:18], v7
	v_fma_f64 v[7:8], v[5:6], s[58:59], v[46:47]
	s_delay_alu instid0(VALU_DEP_3) | instskip(NEXT) | instid1(VALU_DEP_3)
	v_fma_f64 v[15:16], v[48:49], v[50:51], 1.0
	v_dual_cndmask_b32 v6, v18, v45 :: v_dual_and_b32 v5, 1, v0
	s_delay_alu instid0(VALU_DEP_1)
	v_cmp_eq_u32_e64 s1, 0, v5
	v_cndmask_b32_e32 v5, v17, v44, vcc_lo
	v_cmpx_gt_i64_e64 s[16:17], v[12:13]
	s_cbranch_execz .LBB5_34
; %bb.20:                               ;   in Loop: Header=BB5_9 Depth=1
	s_and_not1_b32 vcc_lo, exec_lo, s11
	s_cbranch_vccnz .LBB5_26
; %bb.21:                               ;   in Loop: Header=BB5_9 Depth=1
	v_mov_b32_e32 v0, 0
	s_and_not1_b32 vcc_lo, exec_lo, s80
	s_cbranch_vccnz .LBB5_30
; %bb.22:                               ;   in Loop: Header=BB5_9 Depth=1
	s_and_not1_b32 vcc_lo, exec_lo, s83
	s_mov_b32 s2, 0
	s_cbranch_vccnz .LBB5_27
; %bb.23:                               ;   in Loop: Header=BB5_9 Depth=1
	v_dual_mov_b32 v0, 0 :: v_dual_mov_b32 v17, v12
	s_mov_b32 s87, 0
	s_mov_b64 s[2:3], s[20:21]
	s_mov_b64 s[76:77], s[26:27]
.LBB5_24:                               ;   Parent Loop BB5_9 Depth=1
                                        ; =>  This Inner Loop Header: Depth=2
	s_clause 0x1
	s_load_b256 s[88:95], s[2:3], 0x4
	s_load_b128 s[96:99], s[2:3], 0x24
	s_load_b128 s[100:103], s[76:77], 0x0
	s_add_u32 s2, s2, 48
	s_addc_u32 s3, s3, 0
	s_add_i32 s87, s87, 4
	s_add_u32 s76, s76, 16
	s_addc_u32 s77, s77, 0
	s_cmp_lg_u32 s84, s87
	s_waitcnt lgkmcnt(0)
	v_mul_hi_u32 v18, s89, v17
	s_delay_alu instid0(VALU_DEP_1) | instskip(NEXT) | instid1(VALU_DEP_1)
	v_add_nc_u32_e32 v18, v17, v18
	v_lshrrev_b32_e32 v18, s90, v18
	s_delay_alu instid0(VALU_DEP_1) | instskip(SKIP_1) | instid1(VALU_DEP_2)
	v_mul_hi_u32 v44, s92, v18
	v_mul_lo_u32 v47, v18, s88
	v_add_nc_u32_e32 v44, v18, v44
	s_delay_alu instid0(VALU_DEP_2) | instskip(NEXT) | instid1(VALU_DEP_2)
	v_sub_nc_u32_e32 v47, v17, v47
	v_lshrrev_b32_e32 v44, s93, v44
	s_delay_alu instid0(VALU_DEP_2) | instskip(NEXT) | instid1(VALU_DEP_2)
	v_mul_lo_u32 v47, v47, s100
	v_mul_hi_u32 v45, s95, v44
	v_mul_lo_u32 v48, v44, s91
	s_delay_alu instid0(VALU_DEP_2) | instskip(NEXT) | instid1(VALU_DEP_2)
	v_add_nc_u32_e32 v45, v44, v45
	v_sub_nc_u32_e32 v18, v18, v48
	s_delay_alu instid0(VALU_DEP_2) | instskip(NEXT) | instid1(VALU_DEP_2)
	v_lshrrev_b32_e32 v45, s96, v45
	v_mul_lo_u32 v18, v18, s101
	s_delay_alu instid0(VALU_DEP_2) | instskip(NEXT) | instid1(VALU_DEP_2)
	v_mul_hi_u32 v46, s98, v45
	v_add3_u32 v0, v47, v0, v18
	s_delay_alu instid0(VALU_DEP_2) | instskip(NEXT) | instid1(VALU_DEP_1)
	v_add_nc_u32_e32 v46, v45, v46
	v_lshrrev_b32_e32 v17, s99, v46
	v_mul_lo_u32 v46, v45, s94
	s_delay_alu instid0(VALU_DEP_2) | instskip(NEXT) | instid1(VALU_DEP_2)
	v_mul_lo_u32 v49, v17, s97
	v_sub_nc_u32_e32 v44, v44, v46
	s_delay_alu instid0(VALU_DEP_2) | instskip(NEXT) | instid1(VALU_DEP_2)
	v_sub_nc_u32_e32 v45, v45, v49
	v_mul_lo_u32 v44, v44, s102
	s_delay_alu instid0(VALU_DEP_2) | instskip(NEXT) | instid1(VALU_DEP_1)
	v_mul_lo_u32 v45, v45, s103
	v_add3_u32 v0, v44, v0, v45
	s_cbranch_scc1 .LBB5_24
; %bb.25:                               ;   in Loop: Header=BB5_9 Depth=1
	s_mov_b32 s2, s84
	s_and_not1_b32 vcc_lo, exec_lo, s86
	s_cbranch_vccz .LBB5_28
	s_branch .LBB5_30
.LBB5_26:                               ;   in Loop: Header=BB5_9 Depth=1
                                        ; implicit-def: $vgpr0
	s_branch .LBB5_31
.LBB5_27:                               ;   in Loop: Header=BB5_9 Depth=1
	v_mov_b32_e32 v17, v12
	s_and_not1_b32 vcc_lo, exec_lo, s86
	s_cbranch_vccnz .LBB5_30
.LBB5_28:                               ;   in Loop: Header=BB5_9 Depth=1
	s_lshl_b32 s3, s2, 2
	s_mul_i32 s76, s2, 12
	s_add_u32 s2, s26, s3
	s_addc_u32 s3, s27, 0
	s_add_u32 s76, s20, s76
	s_addc_u32 s77, s21, 0
	s_mov_b32 s87, s82
	.p2align	6
.LBB5_29:                               ;   Parent Loop BB5_9 Depth=1
                                        ; =>  This Inner Loop Header: Depth=2
	s_clause 0x1
	s_load_b64 s[88:89], s[76:77], 0x4
	s_load_b32 s90, s[76:77], 0xc
	s_add_u32 s76, s76, 12
	s_addc_u32 s77, s77, 0
	s_waitcnt lgkmcnt(0)
	v_mul_hi_u32 v18, s89, v17
	s_load_b32 s89, s[2:3], 0x0
	s_add_u32 s2, s2, 4
	s_addc_u32 s3, s3, 0
	s_add_i32 s87, s87, -1
	s_delay_alu instid0(SALU_CYCLE_1) | instskip(NEXT) | instid1(VALU_DEP_1)
	s_cmp_lg_u32 s87, 0
	v_add_nc_u32_e32 v18, v17, v18
	s_delay_alu instid0(VALU_DEP_1) | instskip(NEXT) | instid1(VALU_DEP_1)
	v_lshrrev_b32_e32 v18, s90, v18
	v_mul_lo_u32 v44, v18, s88
	s_delay_alu instid0(VALU_DEP_1) | instskip(SKIP_1) | instid1(VALU_DEP_1)
	v_sub_nc_u32_e32 v17, v17, v44
	s_waitcnt lgkmcnt(0)
	v_mad_u64_u32 v[44:45], null, v17, s89, v[0:1]
	s_delay_alu instid0(VALU_DEP_1)
	v_dual_mov_b32 v17, v18 :: v_dual_mov_b32 v0, v44
	s_cbranch_scc1 .LBB5_29
.LBB5_30:                               ;   in Loop: Header=BB5_9 Depth=1
	s_cbranch_execnz .LBB5_33
.LBB5_31:                               ;   in Loop: Header=BB5_9 Depth=1
	v_mul_hi_u32 v0, v12, s6
	s_and_not1_b32 vcc_lo, exec_lo, s4
	s_delay_alu instid0(VALU_DEP_1) | instskip(NEXT) | instid1(VALU_DEP_1)
	v_add_nc_u32_e32 v0, v0, v12
	v_lshrrev_b32_e32 v17, s7, v0
	s_delay_alu instid0(VALU_DEP_1) | instskip(NEXT) | instid1(VALU_DEP_1)
	v_mul_lo_u32 v0, v17, s5
	v_sub_nc_u32_e32 v0, v12, v0
	s_delay_alu instid0(VALU_DEP_1)
	v_mul_lo_u32 v0, v0, s22
	s_cbranch_vccnz .LBB5_33
; %bb.32:                               ;   in Loop: Header=BB5_9 Depth=1
	v_mul_hi_u32 v18, s9, v17
	s_delay_alu instid0(VALU_DEP_1) | instskip(NEXT) | instid1(VALU_DEP_1)
	v_add_nc_u32_e32 v18, v17, v18
	v_lshrrev_b32_e32 v18, s10, v18
	s_delay_alu instid0(VALU_DEP_1) | instskip(NEXT) | instid1(VALU_DEP_1)
	v_mul_lo_u32 v18, v18, s8
	v_sub_nc_u32_e32 v44, v17, v18
	s_delay_alu instid0(VALU_DEP_1) | instskip(NEXT) | instid1(VALU_DEP_1)
	v_mad_u64_u32 v[17:18], null, v44, s23, v[0:1]
	v_mov_b32_e32 v0, v17
.LBB5_33:                               ;   in Loop: Header=BB5_9 Depth=1
	v_xor_b32_e32 v9, v43, v9
	v_cndmask_b32_e64 v17, v16, v8, s1
	v_cndmask_b32_e64 v18, v15, v7, s1
	s_delay_alu instid0(VALU_DEP_3) | instskip(NEXT) | instid1(VALU_DEP_1)
	v_and_b32_e32 v9, 0x80000000, v9
	v_xor_b32_e32 v9, v17, v9
	s_delay_alu instid0(VALU_DEP_3) | instskip(NEXT) | instid1(VALU_DEP_2)
	v_cndmask_b32_e64 v17, 0, v18, s0
	v_cndmask_b32_e64 v18, 0x7ff80000, v9, s0
	s_delay_alu instid0(VALU_DEP_1) | instskip(NEXT) | instid1(VALU_DEP_1)
	v_mul_f64 v[17:18], v[5:6], v[17:18]
	v_cvt_f32_f64_e32 v9, v[17:18]
	s_delay_alu instid0(VALU_DEP_1) | instskip(NEXT) | instid1(VALU_DEP_1)
	v_fma_f32 v9, s15, v9, s14
	v_mul_f32_e32 v17, 0x3fb8aa3b, v9
	v_cmp_ngt_f32_e32 vcc_lo, 0xc2ce8ed0, v9
	s_delay_alu instid0(VALU_DEP_2) | instskip(SKIP_1) | instid1(VALU_DEP_1)
	v_fma_f32 v18, 0x3fb8aa3b, v9, -v17
	v_rndne_f32_e32 v44, v17
	v_dual_fmac_f32 v18, 0x32a5705f, v9 :: v_dual_sub_f32 v17, v17, v44
	s_delay_alu instid0(VALU_DEP_1) | instskip(SKIP_1) | instid1(VALU_DEP_2)
	v_add_f32_e32 v17, v17, v18
	v_cvt_i32_f32_e32 v18, v44
	v_exp_f32_e32 v17, v17
	s_waitcnt_depctr 0xfff
	v_ldexp_f32 v17, v17, v18
	s_delay_alu instid0(VALU_DEP_1) | instskip(SKIP_1) | instid1(VALU_DEP_2)
	v_cndmask_b32_e32 v17, 0, v17, vcc_lo
	v_cmp_nlt_f32_e32 vcc_lo, 0x42b17218, v9
	v_cndmask_b32_e32 v9, 0x7f800000, v17, vcc_lo
	global_store_b32 v0, v9, s[12:13]
.LBB5_34:                               ;   in Loop: Header=BB5_9 Depth=1
	s_or_b32 exec_lo, exec_lo, s75
	v_add_co_u32 v17, vcc_lo, v12, s33
	v_add_co_ci_u32_e32 v18, vcc_lo, 0, v13, vcc_lo
	s_mov_b32 s75, exec_lo
	s_delay_alu instid0(VALU_DEP_1)
	v_cmpx_gt_i64_e64 s[16:17], v[17:18]
	s_cbranch_execz .LBB5_49
; %bb.35:                               ;   in Loop: Header=BB5_9 Depth=1
	s_and_not1_b32 vcc_lo, exec_lo, s11
	s_cbranch_vccnz .LBB5_41
; %bb.36:                               ;   in Loop: Header=BB5_9 Depth=1
	v_mov_b32_e32 v0, 0
	s_and_not1_b32 vcc_lo, exec_lo, s80
	s_cbranch_vccnz .LBB5_45
; %bb.37:                               ;   in Loop: Header=BB5_9 Depth=1
	s_and_not1_b32 vcc_lo, exec_lo, s83
	s_mov_b32 s2, 0
	s_cbranch_vccnz .LBB5_42
; %bb.38:                               ;   in Loop: Header=BB5_9 Depth=1
	v_dual_mov_b32 v0, 0 :: v_dual_mov_b32 v9, v17
	s_mov_b32 s87, 0
	s_mov_b64 s[2:3], s[20:21]
	s_mov_b64 s[76:77], s[26:27]
.LBB5_39:                               ;   Parent Loop BB5_9 Depth=1
                                        ; =>  This Inner Loop Header: Depth=2
	s_clause 0x1
	s_load_b256 s[88:95], s[2:3], 0x4
	s_load_b128 s[96:99], s[2:3], 0x24
	s_load_b128 s[100:103], s[76:77], 0x0
	s_add_u32 s2, s2, 48
	s_addc_u32 s3, s3, 0
	s_add_i32 s87, s87, 4
	s_add_u32 s76, s76, 16
	s_addc_u32 s77, s77, 0
	s_cmp_eq_u32 s84, s87
	s_waitcnt lgkmcnt(0)
	v_mul_hi_u32 v18, s89, v9
	s_delay_alu instid0(VALU_DEP_1) | instskip(NEXT) | instid1(VALU_DEP_1)
	v_add_nc_u32_e32 v18, v9, v18
	v_lshrrev_b32_e32 v18, s90, v18
	s_delay_alu instid0(VALU_DEP_1) | instskip(SKIP_1) | instid1(VALU_DEP_2)
	v_mul_hi_u32 v44, s92, v18
	v_mul_lo_u32 v47, v18, s88
	v_add_nc_u32_e32 v44, v18, v44
	s_delay_alu instid0(VALU_DEP_2) | instskip(NEXT) | instid1(VALU_DEP_2)
	v_sub_nc_u32_e32 v47, v9, v47
	v_lshrrev_b32_e32 v44, s93, v44
	s_delay_alu instid0(VALU_DEP_2) | instskip(NEXT) | instid1(VALU_DEP_2)
	v_mul_lo_u32 v47, v47, s100
	v_mul_hi_u32 v45, s95, v44
	v_mul_lo_u32 v48, v44, s91
	s_delay_alu instid0(VALU_DEP_2) | instskip(NEXT) | instid1(VALU_DEP_2)
	v_add_nc_u32_e32 v45, v44, v45
	v_sub_nc_u32_e32 v18, v18, v48
	s_delay_alu instid0(VALU_DEP_2) | instskip(NEXT) | instid1(VALU_DEP_2)
	v_lshrrev_b32_e32 v45, s96, v45
	v_mul_lo_u32 v18, v18, s101
	s_delay_alu instid0(VALU_DEP_2) | instskip(NEXT) | instid1(VALU_DEP_2)
	v_mul_hi_u32 v46, s98, v45
	v_add3_u32 v0, v47, v0, v18
	s_delay_alu instid0(VALU_DEP_2) | instskip(NEXT) | instid1(VALU_DEP_1)
	v_add_nc_u32_e32 v46, v45, v46
	v_lshrrev_b32_e32 v9, s99, v46
	v_mul_lo_u32 v46, v45, s94
	s_delay_alu instid0(VALU_DEP_2) | instskip(NEXT) | instid1(VALU_DEP_2)
	v_mul_lo_u32 v49, v9, s97
	v_sub_nc_u32_e32 v44, v44, v46
	s_delay_alu instid0(VALU_DEP_2) | instskip(NEXT) | instid1(VALU_DEP_2)
	v_sub_nc_u32_e32 v45, v45, v49
	v_mul_lo_u32 v44, v44, s102
	s_delay_alu instid0(VALU_DEP_2) | instskip(NEXT) | instid1(VALU_DEP_1)
	v_mul_lo_u32 v45, v45, s103
	v_add3_u32 v0, v44, v0, v45
	s_cbranch_scc0 .LBB5_39
; %bb.40:                               ;   in Loop: Header=BB5_9 Depth=1
	s_mov_b32 s2, s84
	s_and_not1_b32 vcc_lo, exec_lo, s86
	s_cbranch_vccz .LBB5_43
	s_branch .LBB5_45
.LBB5_41:                               ;   in Loop: Header=BB5_9 Depth=1
                                        ; implicit-def: $vgpr0
	s_branch .LBB5_46
.LBB5_42:                               ;   in Loop: Header=BB5_9 Depth=1
	v_mov_b32_e32 v9, v17
	s_and_not1_b32 vcc_lo, exec_lo, s86
	s_cbranch_vccnz .LBB5_45
.LBB5_43:                               ;   in Loop: Header=BB5_9 Depth=1
	s_lshl_b32 s3, s2, 2
	s_mul_i32 s76, s2, 12
	s_add_u32 s2, s26, s3
	s_addc_u32 s3, s27, 0
	s_add_u32 s76, s20, s76
	s_addc_u32 s77, s21, 0
	s_mov_b32 s87, s82
	.p2align	6
.LBB5_44:                               ;   Parent Loop BB5_9 Depth=1
                                        ; =>  This Inner Loop Header: Depth=2
	s_clause 0x1
	s_load_b64 s[88:89], s[76:77], 0x4
	s_load_b32 s90, s[76:77], 0xc
	s_add_u32 s76, s76, 12
	s_addc_u32 s77, s77, 0
	s_waitcnt lgkmcnt(0)
	v_mul_hi_u32 v18, s89, v9
	s_load_b32 s89, s[2:3], 0x0
	s_add_u32 s2, s2, 4
	s_addc_u32 s3, s3, 0
	s_add_i32 s87, s87, -1
	s_delay_alu instid0(SALU_CYCLE_1) | instskip(NEXT) | instid1(VALU_DEP_1)
	s_cmp_lg_u32 s87, 0
	v_add_nc_u32_e32 v18, v9, v18
	s_delay_alu instid0(VALU_DEP_1) | instskip(NEXT) | instid1(VALU_DEP_1)
	v_lshrrev_b32_e32 v18, s90, v18
	v_mul_lo_u32 v44, v18, s88
	s_delay_alu instid0(VALU_DEP_1) | instskip(SKIP_1) | instid1(VALU_DEP_1)
	v_sub_nc_u32_e32 v9, v9, v44
	s_waitcnt lgkmcnt(0)
	v_mad_u64_u32 v[44:45], null, v9, s89, v[0:1]
	s_delay_alu instid0(VALU_DEP_1)
	v_dual_mov_b32 v9, v18 :: v_dual_mov_b32 v0, v44
	s_cbranch_scc1 .LBB5_44
.LBB5_45:                               ;   in Loop: Header=BB5_9 Depth=1
	s_cbranch_execnz .LBB5_48
.LBB5_46:                               ;   in Loop: Header=BB5_9 Depth=1
	v_mul_hi_u32 v0, v17, s6
	s_and_not1_b32 vcc_lo, exec_lo, s4
	s_delay_alu instid0(VALU_DEP_1) | instskip(NEXT) | instid1(VALU_DEP_1)
	v_add_nc_u32_e32 v0, v0, v17
	v_lshrrev_b32_e32 v9, s7, v0
	s_delay_alu instid0(VALU_DEP_1) | instskip(NEXT) | instid1(VALU_DEP_1)
	v_mul_lo_u32 v0, v9, s5
	v_sub_nc_u32_e32 v0, v17, v0
	s_delay_alu instid0(VALU_DEP_1)
	v_mul_lo_u32 v0, v0, s22
	s_cbranch_vccnz .LBB5_48
; %bb.47:                               ;   in Loop: Header=BB5_9 Depth=1
	v_mul_hi_u32 v17, s9, v9
	s_delay_alu instid0(VALU_DEP_1) | instskip(NEXT) | instid1(VALU_DEP_1)
	v_add_nc_u32_e32 v17, v9, v17
	v_lshrrev_b32_e32 v17, s10, v17
	s_delay_alu instid0(VALU_DEP_1) | instskip(NEXT) | instid1(VALU_DEP_1)
	v_mul_lo_u32 v17, v17, s8
	v_sub_nc_u32_e32 v9, v9, v17
	s_delay_alu instid0(VALU_DEP_1) | instskip(NEXT) | instid1(VALU_DEP_1)
	v_mad_u64_u32 v[17:18], null, v9, s23, v[0:1]
	v_mov_b32_e32 v0, v17
.LBB5_48:                               ;   in Loop: Header=BB5_9 Depth=1
	v_xor_b32_e32 v8, 0x80000000, v8
	v_and_b32_e32 v9, 0x80000000, v43
	v_cndmask_b32_e64 v7, v7, v15, s1
	s_delay_alu instid0(VALU_DEP_3) | instskip(NEXT) | instid1(VALU_DEP_2)
	v_cndmask_b32_e64 v8, v8, v16, s1
	v_cndmask_b32_e64 v7, 0, v7, s0
	s_delay_alu instid0(VALU_DEP_2) | instskip(NEXT) | instid1(VALU_DEP_1)
	v_xor_b32_e32 v8, v8, v9
	v_cndmask_b32_e64 v8, 0x7ff80000, v8, s0
	s_delay_alu instid0(VALU_DEP_1) | instskip(NEXT) | instid1(VALU_DEP_1)
	v_mul_f64 v[5:6], v[5:6], v[7:8]
	v_cvt_f32_f64_e32 v5, v[5:6]
	s_delay_alu instid0(VALU_DEP_1) | instskip(NEXT) | instid1(VALU_DEP_1)
	v_fma_f32 v5, s15, v5, s14
	v_mul_f32_e32 v6, 0x3fb8aa3b, v5
	v_cmp_ngt_f32_e32 vcc_lo, 0xc2ce8ed0, v5
	s_delay_alu instid0(VALU_DEP_2) | instskip(SKIP_1) | instid1(VALU_DEP_1)
	v_fma_f32 v7, 0x3fb8aa3b, v5, -v6
	v_rndne_f32_e32 v8, v6
	v_dual_fmac_f32 v7, 0x32a5705f, v5 :: v_dual_sub_f32 v6, v6, v8
	s_delay_alu instid0(VALU_DEP_1) | instskip(SKIP_1) | instid1(VALU_DEP_2)
	v_add_f32_e32 v6, v6, v7
	v_cvt_i32_f32_e32 v7, v8
	v_exp_f32_e32 v6, v6
	s_waitcnt_depctr 0xfff
	v_ldexp_f32 v6, v6, v7
	s_delay_alu instid0(VALU_DEP_1) | instskip(SKIP_1) | instid1(VALU_DEP_2)
	v_cndmask_b32_e32 v6, 0, v6, vcc_lo
	v_cmp_nlt_f32_e32 vcc_lo, 0x42b17218, v5
	v_cndmask_b32_e32 v5, 0x7f800000, v6, vcc_lo
	global_store_b32 v0, v5, s[12:13]
.LBB5_49:                               ;   in Loop: Header=BB5_9 Depth=1
	s_or_b32 exec_lo, exec_lo, s75
	v_add_co_u32 v5, vcc_lo, v12, s81
	v_add_co_ci_u32_e32 v6, vcc_lo, 0, v13, vcc_lo
	s_mov_b32 s75, exec_lo
	s_delay_alu instid0(VALU_DEP_1)
	v_cmpx_gt_i64_e64 s[16:17], v[5:6]
	s_cbranch_execz .LBB5_64
; %bb.50:                               ;   in Loop: Header=BB5_9 Depth=1
	s_and_not1_b32 vcc_lo, exec_lo, s11
	s_cbranch_vccnz .LBB5_56
; %bb.51:                               ;   in Loop: Header=BB5_9 Depth=1
	v_mov_b32_e32 v0, 0
	s_and_not1_b32 vcc_lo, exec_lo, s80
	s_cbranch_vccnz .LBB5_60
; %bb.52:                               ;   in Loop: Header=BB5_9 Depth=1
	s_and_not1_b32 vcc_lo, exec_lo, s83
	s_mov_b32 s0, 0
	s_cbranch_vccnz .LBB5_57
; %bb.53:                               ;   in Loop: Header=BB5_9 Depth=1
	v_mov_b32_e32 v0, 0
	v_mov_b32_e32 v6, v5
	s_mov_b32 s76, 0
	s_mov_b64 s[0:1], s[20:21]
	s_mov_b64 s[2:3], s[26:27]
.LBB5_54:                               ;   Parent Loop BB5_9 Depth=1
                                        ; =>  This Inner Loop Header: Depth=2
	s_clause 0x1
	s_load_b256 s[88:95], s[0:1], 0x4
	s_load_b128 s[96:99], s[0:1], 0x24
	s_load_b128 s[100:103], s[2:3], 0x0
	s_add_u32 s0, s0, 48
	s_addc_u32 s1, s1, 0
	s_add_i32 s76, s76, 4
	s_add_u32 s2, s2, 16
	s_addc_u32 s3, s3, 0
	s_cmp_eq_u32 s84, s76
	s_waitcnt lgkmcnt(0)
	v_mul_hi_u32 v7, s89, v6
	s_delay_alu instid0(VALU_DEP_1) | instskip(NEXT) | instid1(VALU_DEP_1)
	v_add_nc_u32_e32 v7, v6, v7
	v_lshrrev_b32_e32 v7, s90, v7
	s_delay_alu instid0(VALU_DEP_1) | instskip(SKIP_1) | instid1(VALU_DEP_2)
	v_mul_hi_u32 v8, s92, v7
	v_mul_lo_u32 v16, v7, s88
	v_add_nc_u32_e32 v8, v7, v8
	s_delay_alu instid0(VALU_DEP_2) | instskip(NEXT) | instid1(VALU_DEP_2)
	v_sub_nc_u32_e32 v16, v6, v16
	v_lshrrev_b32_e32 v8, s93, v8
	s_delay_alu instid0(VALU_DEP_2) | instskip(NEXT) | instid1(VALU_DEP_2)
	v_mul_lo_u32 v16, v16, s100
	v_mul_hi_u32 v9, s95, v8
	v_mul_lo_u32 v17, v8, s91
	s_delay_alu instid0(VALU_DEP_2) | instskip(NEXT) | instid1(VALU_DEP_2)
	v_add_nc_u32_e32 v9, v8, v9
	v_sub_nc_u32_e32 v7, v7, v17
	s_delay_alu instid0(VALU_DEP_2) | instskip(NEXT) | instid1(VALU_DEP_2)
	v_lshrrev_b32_e32 v9, s96, v9
	v_mul_lo_u32 v7, v7, s101
	s_delay_alu instid0(VALU_DEP_2) | instskip(NEXT) | instid1(VALU_DEP_2)
	v_mul_hi_u32 v15, s98, v9
	v_add3_u32 v0, v16, v0, v7
	s_delay_alu instid0(VALU_DEP_2) | instskip(NEXT) | instid1(VALU_DEP_1)
	v_add_nc_u32_e32 v15, v9, v15
	v_lshrrev_b32_e32 v6, s99, v15
	v_mul_lo_u32 v15, v9, s94
	s_delay_alu instid0(VALU_DEP_2) | instskip(NEXT) | instid1(VALU_DEP_2)
	v_mul_lo_u32 v18, v6, s97
	v_sub_nc_u32_e32 v8, v8, v15
	s_delay_alu instid0(VALU_DEP_2) | instskip(NEXT) | instid1(VALU_DEP_2)
	v_sub_nc_u32_e32 v9, v9, v18
	v_mul_lo_u32 v8, v8, s102
	s_delay_alu instid0(VALU_DEP_2) | instskip(NEXT) | instid1(VALU_DEP_1)
	v_mul_lo_u32 v9, v9, s103
	v_add3_u32 v0, v8, v0, v9
	s_cbranch_scc0 .LBB5_54
; %bb.55:                               ;   in Loop: Header=BB5_9 Depth=1
	s_mov_b32 s0, s84
	s_and_not1_b32 vcc_lo, exec_lo, s86
	s_cbranch_vccz .LBB5_58
	s_branch .LBB5_60
.LBB5_56:                               ;   in Loop: Header=BB5_9 Depth=1
                                        ; implicit-def: $vgpr0
	s_branch .LBB5_61
.LBB5_57:                               ;   in Loop: Header=BB5_9 Depth=1
	v_mov_b32_e32 v6, v5
	s_and_not1_b32 vcc_lo, exec_lo, s86
	s_cbranch_vccnz .LBB5_60
.LBB5_58:                               ;   in Loop: Header=BB5_9 Depth=1
	s_lshl_b32 s1, s0, 2
	s_mul_i32 s2, s0, 12
	s_add_u32 s0, s26, s1
	s_addc_u32 s1, s27, 0
	s_add_u32 s2, s20, s2
	s_addc_u32 s3, s21, 0
	s_mov_b32 s76, s82
	.p2align	6
.LBB5_59:                               ;   Parent Loop BB5_9 Depth=1
                                        ; =>  This Inner Loop Header: Depth=2
	s_clause 0x1
	s_load_b64 s[88:89], s[2:3], 0x4
	s_load_b32 s77, s[2:3], 0xc
	s_load_b32 s87, s[0:1], 0x0
	s_add_u32 s2, s2, 12
	s_addc_u32 s3, s3, 0
	s_add_u32 s0, s0, 4
	s_addc_u32 s1, s1, 0
	s_add_i32 s76, s76, -1
	s_delay_alu instid0(SALU_CYCLE_1) | instskip(SKIP_2) | instid1(VALU_DEP_1)
	s_cmp_lg_u32 s76, 0
	s_waitcnt lgkmcnt(0)
	v_mul_hi_u32 v7, s89, v6
	v_add_nc_u32_e32 v7, v6, v7
	s_delay_alu instid0(VALU_DEP_1) | instskip(NEXT) | instid1(VALU_DEP_1)
	v_lshrrev_b32_e32 v9, s77, v7
	v_mul_lo_u32 v7, v9, s88
	s_delay_alu instid0(VALU_DEP_1) | instskip(NEXT) | instid1(VALU_DEP_1)
	v_sub_nc_u32_e32 v6, v6, v7
	v_mad_u64_u32 v[7:8], null, v6, s87, v[0:1]
	v_mov_b32_e32 v6, v9
	s_delay_alu instid0(VALU_DEP_2)
	v_mov_b32_e32 v0, v7
	s_cbranch_scc1 .LBB5_59
.LBB5_60:                               ;   in Loop: Header=BB5_9 Depth=1
	s_cbranch_execnz .LBB5_63
.LBB5_61:                               ;   in Loop: Header=BB5_9 Depth=1
	v_mul_hi_u32 v0, v5, s6
	s_and_not1_b32 vcc_lo, exec_lo, s4
	s_delay_alu instid0(VALU_DEP_1) | instskip(NEXT) | instid1(VALU_DEP_1)
	v_add_nc_u32_e32 v0, v0, v5
	v_lshrrev_b32_e32 v6, s7, v0
	s_delay_alu instid0(VALU_DEP_1) | instskip(NEXT) | instid1(VALU_DEP_1)
	v_mul_lo_u32 v0, v6, s5
	v_sub_nc_u32_e32 v0, v5, v0
	s_delay_alu instid0(VALU_DEP_1)
	v_mul_lo_u32 v0, v0, s22
	s_cbranch_vccnz .LBB5_63
; %bb.62:                               ;   in Loop: Header=BB5_9 Depth=1
	v_mul_hi_u32 v5, s9, v6
	s_delay_alu instid0(VALU_DEP_1) | instskip(NEXT) | instid1(VALU_DEP_1)
	v_add_nc_u32_e32 v5, v6, v5
	v_lshrrev_b32_e32 v5, s10, v5
	s_delay_alu instid0(VALU_DEP_1) | instskip(NEXT) | instid1(VALU_DEP_1)
	v_mul_lo_u32 v5, v5, s8
	v_sub_nc_u32_e32 v7, v6, v5
	s_delay_alu instid0(VALU_DEP_1) | instskip(NEXT) | instid1(VALU_DEP_1)
	v_mad_u64_u32 v[5:6], null, v7, s23, v[0:1]
	v_mov_b32_e32 v0, v5
.LBB5_63:                               ;   in Loop: Header=BB5_9 Depth=1
	global_store_b32 v0, v40, s[12:13]
.LBB5_64:                               ;   in Loop: Header=BB5_9 Depth=1
	s_or_b32 exec_lo, exec_lo, s75
	v_add_co_u32 v5, vcc_lo, v12, s85
	v_add_co_ci_u32_e32 v6, vcc_lo, 0, v13, vcc_lo
	s_mov_b32 s75, exec_lo
	s_delay_alu instid0(VALU_DEP_1)
	v_cmpx_gt_i64_e64 s[16:17], v[5:6]
	s_cbranch_execz .LBB5_8
; %bb.65:                               ;   in Loop: Header=BB5_9 Depth=1
	s_and_not1_b32 vcc_lo, exec_lo, s11
	s_cbranch_vccnz .LBB5_71
; %bb.66:                               ;   in Loop: Header=BB5_9 Depth=1
	v_mov_b32_e32 v0, 0
	s_and_not1_b32 vcc_lo, exec_lo, s80
	s_cbranch_vccnz .LBB5_75
; %bb.67:                               ;   in Loop: Header=BB5_9 Depth=1
	s_and_not1_b32 vcc_lo, exec_lo, s83
	s_mov_b32 s0, 0
	s_cbranch_vccnz .LBB5_72
; %bb.68:                               ;   in Loop: Header=BB5_9 Depth=1
	v_mov_b32_e32 v0, 0
	v_mov_b32_e32 v6, v5
	s_mov_b32 s76, 0
	s_mov_b64 s[0:1], s[20:21]
	s_mov_b64 s[2:3], s[26:27]
.LBB5_69:                               ;   Parent Loop BB5_9 Depth=1
                                        ; =>  This Inner Loop Header: Depth=2
	s_clause 0x1
	s_load_b256 s[88:95], s[0:1], 0x4
	s_load_b128 s[96:99], s[0:1], 0x24
	s_load_b128 s[100:103], s[2:3], 0x0
	s_add_u32 s0, s0, 48
	s_addc_u32 s1, s1, 0
	s_add_i32 s76, s76, 4
	s_add_u32 s2, s2, 16
	s_addc_u32 s3, s3, 0
	s_cmp_eq_u32 s84, s76
	s_waitcnt lgkmcnt(0)
	v_mul_hi_u32 v7, s89, v6
	s_delay_alu instid0(VALU_DEP_1) | instskip(NEXT) | instid1(VALU_DEP_1)
	v_add_nc_u32_e32 v7, v6, v7
	v_lshrrev_b32_e32 v7, s90, v7
	s_delay_alu instid0(VALU_DEP_1) | instskip(SKIP_1) | instid1(VALU_DEP_2)
	v_mul_hi_u32 v8, s92, v7
	v_mul_lo_u32 v16, v7, s88
	v_add_nc_u32_e32 v8, v7, v8
	s_delay_alu instid0(VALU_DEP_2) | instskip(NEXT) | instid1(VALU_DEP_2)
	v_sub_nc_u32_e32 v16, v6, v16
	v_lshrrev_b32_e32 v8, s93, v8
	s_delay_alu instid0(VALU_DEP_2) | instskip(NEXT) | instid1(VALU_DEP_2)
	v_mul_lo_u32 v16, v16, s100
	v_mul_hi_u32 v9, s95, v8
	v_mul_lo_u32 v17, v8, s91
	s_delay_alu instid0(VALU_DEP_2) | instskip(NEXT) | instid1(VALU_DEP_2)
	v_add_nc_u32_e32 v9, v8, v9
	v_sub_nc_u32_e32 v7, v7, v17
	s_delay_alu instid0(VALU_DEP_2) | instskip(NEXT) | instid1(VALU_DEP_2)
	v_lshrrev_b32_e32 v9, s96, v9
	v_mul_lo_u32 v7, v7, s101
	s_delay_alu instid0(VALU_DEP_2) | instskip(NEXT) | instid1(VALU_DEP_2)
	v_mul_hi_u32 v15, s98, v9
	v_add3_u32 v0, v16, v0, v7
	s_delay_alu instid0(VALU_DEP_2) | instskip(NEXT) | instid1(VALU_DEP_1)
	v_add_nc_u32_e32 v15, v9, v15
	v_lshrrev_b32_e32 v6, s99, v15
	v_mul_lo_u32 v15, v9, s94
	s_delay_alu instid0(VALU_DEP_2) | instskip(NEXT) | instid1(VALU_DEP_2)
	v_mul_lo_u32 v18, v6, s97
	v_sub_nc_u32_e32 v8, v8, v15
	s_delay_alu instid0(VALU_DEP_2) | instskip(NEXT) | instid1(VALU_DEP_2)
	v_sub_nc_u32_e32 v9, v9, v18
	v_mul_lo_u32 v8, v8, s102
	s_delay_alu instid0(VALU_DEP_2) | instskip(NEXT) | instid1(VALU_DEP_1)
	v_mul_lo_u32 v9, v9, s103
	v_add3_u32 v0, v8, v0, v9
	s_cbranch_scc0 .LBB5_69
; %bb.70:                               ;   in Loop: Header=BB5_9 Depth=1
	s_mov_b32 s0, s84
	s_and_not1_b32 vcc_lo, exec_lo, s86
	s_cbranch_vccz .LBB5_73
	s_branch .LBB5_75
.LBB5_71:                               ;   in Loop: Header=BB5_9 Depth=1
                                        ; implicit-def: $vgpr0
	s_branch .LBB5_76
.LBB5_72:                               ;   in Loop: Header=BB5_9 Depth=1
	v_mov_b32_e32 v6, v5
	s_and_not1_b32 vcc_lo, exec_lo, s86
	s_cbranch_vccnz .LBB5_75
.LBB5_73:                               ;   in Loop: Header=BB5_9 Depth=1
	s_lshl_b32 s1, s0, 2
	s_mul_i32 s2, s0, 12
	s_add_u32 s0, s26, s1
	s_addc_u32 s1, s27, 0
	s_add_u32 s2, s20, s2
	s_addc_u32 s3, s21, 0
	s_mov_b32 s76, s82
	.p2align	6
.LBB5_74:                               ;   Parent Loop BB5_9 Depth=1
                                        ; =>  This Inner Loop Header: Depth=2
	s_clause 0x1
	s_load_b64 s[88:89], s[2:3], 0x4
	s_load_b32 s77, s[2:3], 0xc
	s_load_b32 s87, s[0:1], 0x0
	s_add_u32 s2, s2, 12
	s_addc_u32 s3, s3, 0
	s_add_u32 s0, s0, 4
	s_addc_u32 s1, s1, 0
	s_add_i32 s76, s76, -1
	s_delay_alu instid0(SALU_CYCLE_1) | instskip(SKIP_2) | instid1(VALU_DEP_1)
	s_cmp_lg_u32 s76, 0
	s_waitcnt lgkmcnt(0)
	v_mul_hi_u32 v7, s89, v6
	v_add_nc_u32_e32 v7, v6, v7
	s_delay_alu instid0(VALU_DEP_1) | instskip(NEXT) | instid1(VALU_DEP_1)
	v_lshrrev_b32_e32 v9, s77, v7
	v_mul_lo_u32 v7, v9, s88
	s_delay_alu instid0(VALU_DEP_1) | instskip(NEXT) | instid1(VALU_DEP_1)
	v_sub_nc_u32_e32 v6, v6, v7
	v_mad_u64_u32 v[7:8], null, v6, s87, v[0:1]
	v_mov_b32_e32 v6, v9
	s_delay_alu instid0(VALU_DEP_2)
	v_mov_b32_e32 v0, v7
	s_cbranch_scc1 .LBB5_74
.LBB5_75:                               ;   in Loop: Header=BB5_9 Depth=1
	s_cbranch_execnz .LBB5_7
.LBB5_76:                               ;   in Loop: Header=BB5_9 Depth=1
	v_mul_hi_u32 v0, v5, s6
	s_and_not1_b32 vcc_lo, exec_lo, s4
	s_delay_alu instid0(VALU_DEP_1) | instskip(NEXT) | instid1(VALU_DEP_1)
	v_add_nc_u32_e32 v0, v0, v5
	v_lshrrev_b32_e32 v6, s7, v0
	s_delay_alu instid0(VALU_DEP_1) | instskip(NEXT) | instid1(VALU_DEP_1)
	v_mul_lo_u32 v0, v6, s5
	v_sub_nc_u32_e32 v0, v5, v0
	s_delay_alu instid0(VALU_DEP_1)
	v_mul_lo_u32 v0, v0, s22
	s_cbranch_vccnz .LBB5_7
; %bb.77:                               ;   in Loop: Header=BB5_9 Depth=1
	v_mul_hi_u32 v5, s9, v6
	s_delay_alu instid0(VALU_DEP_1) | instskip(NEXT) | instid1(VALU_DEP_1)
	v_add_nc_u32_e32 v5, v6, v5
	v_lshrrev_b32_e32 v5, s10, v5
	s_delay_alu instid0(VALU_DEP_1) | instskip(NEXT) | instid1(VALU_DEP_1)
	v_mul_lo_u32 v5, v5, s8
	v_sub_nc_u32_e32 v7, v6, v5
	s_delay_alu instid0(VALU_DEP_1) | instskip(NEXT) | instid1(VALU_DEP_1)
	v_mad_u64_u32 v[5:6], null, v7, s23, v[0:1]
	v_mov_b32_e32 v0, v5
	s_branch .LBB5_7
.LBB5_78:
	s_endpgm
.LBB5_79:
                                        ; implicit-def: $sgpr2_sgpr3
	s_branch .LBB5_4
	.section	.rodata,"a",@progbits
	.p2align	6, 0x0
	.amdhsa_kernel _ZN2at6native12_GLOBAL__N_143distribution_elementwise_grid_stride_kernelIfLi4EZNS0_9templates4cuda20normal_and_transformIffPNS_17CUDAGeneratorImplEZZZNS4_17log_normal_kernelIS7_EEvRNS_18TensorIteratorBaseEddT_ENKUlvE_clEvENKUlvE0_clEvEUlfE_EEvSA_T1_T2_EUlP25hiprandStatePhilox4_32_10E_ZNS1_27distribution_nullary_kernelIff15HIP_vector_typeIdLj2EES7_SJ_SE_EEvSA_SG_RKT3_T4_EUlifE0_EEvlNS_15PhiloxCudaStateESF_SG_
		.amdhsa_group_segment_fixed_size 0
		.amdhsa_private_segment_fixed_size 0
		.amdhsa_kernarg_size 584
		.amdhsa_user_sgpr_count 15
		.amdhsa_user_sgpr_dispatch_ptr 0
		.amdhsa_user_sgpr_queue_ptr 0
		.amdhsa_user_sgpr_kernarg_segment_ptr 1
		.amdhsa_user_sgpr_dispatch_id 0
		.amdhsa_user_sgpr_private_segment_size 0
		.amdhsa_wavefront_size32 1
		.amdhsa_uses_dynamic_stack 0
		.amdhsa_enable_private_segment 0
		.amdhsa_system_sgpr_workgroup_id_x 1
		.amdhsa_system_sgpr_workgroup_id_y 0
		.amdhsa_system_sgpr_workgroup_id_z 0
		.amdhsa_system_sgpr_workgroup_info 0
		.amdhsa_system_vgpr_workitem_id 0
		.amdhsa_next_free_vgpr 58
		.amdhsa_next_free_sgpr 104
		.amdhsa_reserve_vcc 1
		.amdhsa_float_round_mode_32 0
		.amdhsa_float_round_mode_16_64 0
		.amdhsa_float_denorm_mode_32 3
		.amdhsa_float_denorm_mode_16_64 3
		.amdhsa_dx10_clamp 1
		.amdhsa_ieee_mode 1
		.amdhsa_fp16_overflow 0
		.amdhsa_workgroup_processor_mode 1
		.amdhsa_memory_ordered 1
		.amdhsa_forward_progress 0
		.amdhsa_shared_vgpr_count 0
		.amdhsa_exception_fp_ieee_invalid_op 0
		.amdhsa_exception_fp_denorm_src 0
		.amdhsa_exception_fp_ieee_div_zero 0
		.amdhsa_exception_fp_ieee_overflow 0
		.amdhsa_exception_fp_ieee_underflow 0
		.amdhsa_exception_fp_ieee_inexact 0
		.amdhsa_exception_int_div_zero 0
	.end_amdhsa_kernel
	.section	.text._ZN2at6native12_GLOBAL__N_143distribution_elementwise_grid_stride_kernelIfLi4EZNS0_9templates4cuda20normal_and_transformIffPNS_17CUDAGeneratorImplEZZZNS4_17log_normal_kernelIS7_EEvRNS_18TensorIteratorBaseEddT_ENKUlvE_clEvENKUlvE0_clEvEUlfE_EEvSA_T1_T2_EUlP25hiprandStatePhilox4_32_10E_ZNS1_27distribution_nullary_kernelIff15HIP_vector_typeIdLj2EES7_SJ_SE_EEvSA_SG_RKT3_T4_EUlifE0_EEvlNS_15PhiloxCudaStateESF_SG_,"axG",@progbits,_ZN2at6native12_GLOBAL__N_143distribution_elementwise_grid_stride_kernelIfLi4EZNS0_9templates4cuda20normal_and_transformIffPNS_17CUDAGeneratorImplEZZZNS4_17log_normal_kernelIS7_EEvRNS_18TensorIteratorBaseEddT_ENKUlvE_clEvENKUlvE0_clEvEUlfE_EEvSA_T1_T2_EUlP25hiprandStatePhilox4_32_10E_ZNS1_27distribution_nullary_kernelIff15HIP_vector_typeIdLj2EES7_SJ_SE_EEvSA_SG_RKT3_T4_EUlifE0_EEvlNS_15PhiloxCudaStateESF_SG_,comdat
.Lfunc_end5:
	.size	_ZN2at6native12_GLOBAL__N_143distribution_elementwise_grid_stride_kernelIfLi4EZNS0_9templates4cuda20normal_and_transformIffPNS_17CUDAGeneratorImplEZZZNS4_17log_normal_kernelIS7_EEvRNS_18TensorIteratorBaseEddT_ENKUlvE_clEvENKUlvE0_clEvEUlfE_EEvSA_T1_T2_EUlP25hiprandStatePhilox4_32_10E_ZNS1_27distribution_nullary_kernelIff15HIP_vector_typeIdLj2EES7_SJ_SE_EEvSA_SG_RKT3_T4_EUlifE0_EEvlNS_15PhiloxCudaStateESF_SG_, .Lfunc_end5-_ZN2at6native12_GLOBAL__N_143distribution_elementwise_grid_stride_kernelIfLi4EZNS0_9templates4cuda20normal_and_transformIffPNS_17CUDAGeneratorImplEZZZNS4_17log_normal_kernelIS7_EEvRNS_18TensorIteratorBaseEddT_ENKUlvE_clEvENKUlvE0_clEvEUlfE_EEvSA_T1_T2_EUlP25hiprandStatePhilox4_32_10E_ZNS1_27distribution_nullary_kernelIff15HIP_vector_typeIdLj2EES7_SJ_SE_EEvSA_SG_RKT3_T4_EUlifE0_EEvlNS_15PhiloxCudaStateESF_SG_
                                        ; -- End function
	.section	.AMDGPU.csdata,"",@progbits
; Kernel info:
; codeLenInByte = 7264
; NumSgprs: 106
; NumVgprs: 58
; ScratchSize: 0
; MemoryBound: 0
; FloatMode: 240
; IeeeMode: 1
; LDSByteSize: 0 bytes/workgroup (compile time only)
; SGPRBlocks: 13
; VGPRBlocks: 7
; NumSGPRsForWavesPerEU: 106
; NumVGPRsForWavesPerEU: 58
; Occupancy: 16
; WaveLimiterHint : 1
; COMPUTE_PGM_RSRC2:SCRATCH_EN: 0
; COMPUTE_PGM_RSRC2:USER_SGPR: 15
; COMPUTE_PGM_RSRC2:TRAP_HANDLER: 0
; COMPUTE_PGM_RSRC2:TGID_X_EN: 1
; COMPUTE_PGM_RSRC2:TGID_Y_EN: 0
; COMPUTE_PGM_RSRC2:TGID_Z_EN: 0
; COMPUTE_PGM_RSRC2:TIDIG_COMP_CNT: 0
	.section	.text._ZN2at6native12_GLOBAL__N_143distribution_elementwise_grid_stride_kernelIfLi4EZNS0_9templates4cuda20normal_and_transformIffPNS_17CUDAGeneratorImplEZZZNS4_17log_normal_kernelIS7_EEvRNS_18TensorIteratorBaseEddT_ENKUlvE_clEvENKUlvE0_clEvEUlfE_EEvSA_T1_T2_EUlP25hiprandStatePhilox4_32_10E0_ZNS1_27distribution_nullary_kernelIff15HIP_vector_typeIfLj4EES7_SJ_SE_EEvSA_SG_RKT3_T4_EUlifE_EEvlNS_15PhiloxCudaStateESF_SG_,"axG",@progbits,_ZN2at6native12_GLOBAL__N_143distribution_elementwise_grid_stride_kernelIfLi4EZNS0_9templates4cuda20normal_and_transformIffPNS_17CUDAGeneratorImplEZZZNS4_17log_normal_kernelIS7_EEvRNS_18TensorIteratorBaseEddT_ENKUlvE_clEvENKUlvE0_clEvEUlfE_EEvSA_T1_T2_EUlP25hiprandStatePhilox4_32_10E0_ZNS1_27distribution_nullary_kernelIff15HIP_vector_typeIfLj4EES7_SJ_SE_EEvSA_SG_RKT3_T4_EUlifE_EEvlNS_15PhiloxCudaStateESF_SG_,comdat
	.globl	_ZN2at6native12_GLOBAL__N_143distribution_elementwise_grid_stride_kernelIfLi4EZNS0_9templates4cuda20normal_and_transformIffPNS_17CUDAGeneratorImplEZZZNS4_17log_normal_kernelIS7_EEvRNS_18TensorIteratorBaseEddT_ENKUlvE_clEvENKUlvE0_clEvEUlfE_EEvSA_T1_T2_EUlP25hiprandStatePhilox4_32_10E0_ZNS1_27distribution_nullary_kernelIff15HIP_vector_typeIfLj4EES7_SJ_SE_EEvSA_SG_RKT3_T4_EUlifE_EEvlNS_15PhiloxCudaStateESF_SG_ ; -- Begin function _ZN2at6native12_GLOBAL__N_143distribution_elementwise_grid_stride_kernelIfLi4EZNS0_9templates4cuda20normal_and_transformIffPNS_17CUDAGeneratorImplEZZZNS4_17log_normal_kernelIS7_EEvRNS_18TensorIteratorBaseEddT_ENKUlvE_clEvENKUlvE0_clEvEUlfE_EEvSA_T1_T2_EUlP25hiprandStatePhilox4_32_10E0_ZNS1_27distribution_nullary_kernelIff15HIP_vector_typeIfLj4EES7_SJ_SE_EEvSA_SG_RKT3_T4_EUlifE_EEvlNS_15PhiloxCudaStateESF_SG_
	.p2align	8
	.type	_ZN2at6native12_GLOBAL__N_143distribution_elementwise_grid_stride_kernelIfLi4EZNS0_9templates4cuda20normal_and_transformIffPNS_17CUDAGeneratorImplEZZZNS4_17log_normal_kernelIS7_EEvRNS_18TensorIteratorBaseEddT_ENKUlvE_clEvENKUlvE0_clEvEUlfE_EEvSA_T1_T2_EUlP25hiprandStatePhilox4_32_10E0_ZNS1_27distribution_nullary_kernelIff15HIP_vector_typeIfLj4EES7_SJ_SE_EEvSA_SG_RKT3_T4_EUlifE_EEvlNS_15PhiloxCudaStateESF_SG_,@function
_ZN2at6native12_GLOBAL__N_143distribution_elementwise_grid_stride_kernelIfLi4EZNS0_9templates4cuda20normal_and_transformIffPNS_17CUDAGeneratorImplEZZZNS4_17log_normal_kernelIS7_EEvRNS_18TensorIteratorBaseEddT_ENKUlvE_clEvENKUlvE0_clEvEUlfE_EEvSA_T1_T2_EUlP25hiprandStatePhilox4_32_10E0_ZNS1_27distribution_nullary_kernelIff15HIP_vector_typeIfLj4EES7_SJ_SE_EEvSA_SG_RKT3_T4_EUlifE_EEvlNS_15PhiloxCudaStateESF_SG_: ; @_ZN2at6native12_GLOBAL__N_143distribution_elementwise_grid_stride_kernelIfLi4EZNS0_9templates4cuda20normal_and_transformIffPNS_17CUDAGeneratorImplEZZZNS4_17log_normal_kernelIS7_EEvRNS_18TensorIteratorBaseEddT_ENKUlvE_clEvENKUlvE0_clEvEUlfE_EEvSA_T1_T2_EUlP25hiprandStatePhilox4_32_10E0_ZNS1_27distribution_nullary_kernelIff15HIP_vector_typeIfLj4EES7_SJ_SE_EEvSA_SG_RKT3_T4_EUlifE_EEvlNS_15PhiloxCudaStateESF_SG_
; %bb.0:
	s_clause 0x2
	s_load_b64 s[8:9], s[0:1], 0x10
	s_load_b128 s[4:7], s[0:1], 0x0
	s_load_b32 s2, s[0:1], 0x20
	s_waitcnt lgkmcnt(0)
	v_dual_mov_b32 v2, s8 :: v_dual_mov_b32 v3, s9
	v_dual_mov_b32 v9, s7 :: v_dual_mov_b32 v8, s6
	s_bitcmp0_b32 s2, 0
	s_mov_b32 s2, 0
	s_cbranch_scc1 .LBB6_2
; %bb.1:
	v_dual_mov_b32 v1, s8 :: v_dual_mov_b32 v2, s9
	v_dual_mov_b32 v4, s6 :: v_dual_mov_b32 v5, s7
	s_load_b64 s[6:7], s[0:1], 0x18
	flat_load_b64 v[2:3], v[1:2]
	flat_load_b64 v[8:9], v[4:5]
	s_waitcnt vmcnt(1) lgkmcnt(0)
	v_add_co_u32 v2, vcc_lo, v2, s6
	v_add_co_ci_u32_e32 v3, vcc_lo, s7, v3, vcc_lo
.LBB6_2:
	s_clause 0x1
	s_load_b32 s3, s[0:1], 0x54
	s_load_b32 s16, s[0:1], 0x48
	s_waitcnt lgkmcnt(0)
	s_and_b32 s14, s3, 0xffff
	s_add_u32 s6, s4, -1
	s_mul_i32 s12, s16, s14
	s_addc_u32 s3, s5, -1
	s_lshl_b32 s13, s12, 2
	s_cmp_lg_u64 s[2:3], 0
	s_cbranch_scc0 .LBB6_27
; %bb.3:
	v_cvt_f32_ubyte0_e32 v1, 0
	v_cvt_f32_u32_e32 v4, s13
	s_sub_u32 s8, 0, s13
	s_subb_u32 s9, 0, 0
	s_delay_alu instid0(VALU_DEP_1) | instskip(NEXT) | instid1(VALU_DEP_1)
	v_fmamk_f32 v1, v1, 0x4f800000, v4
	v_rcp_f32_e32 v1, v1
	s_waitcnt_depctr 0xfff
	v_mul_f32_e32 v1, 0x5f7ffffc, v1
	s_delay_alu instid0(VALU_DEP_1) | instskip(NEXT) | instid1(VALU_DEP_1)
	v_mul_f32_e32 v4, 0x2f800000, v1
	v_trunc_f32_e32 v4, v4
	s_delay_alu instid0(VALU_DEP_1) | instskip(SKIP_1) | instid1(VALU_DEP_2)
	v_fmamk_f32 v1, v4, 0xcf800000, v1
	v_cvt_u32_f32_e32 v4, v4
	v_cvt_u32_f32_e32 v1, v1
	s_delay_alu instid0(VALU_DEP_2) | instskip(NEXT) | instid1(VALU_DEP_2)
	v_readfirstlane_b32 s2, v4
	v_readfirstlane_b32 s7, v1
	s_delay_alu instid0(VALU_DEP_2) | instskip(NEXT) | instid1(VALU_DEP_1)
	s_mul_i32 s10, s8, s2
	s_mul_hi_u32 s17, s8, s7
	s_mul_i32 s11, s9, s7
	s_add_i32 s10, s17, s10
	s_mul_i32 s18, s8, s7
	s_add_i32 s10, s10, s11
	s_mul_hi_u32 s17, s7, s18
	s_mul_hi_u32 s19, s2, s18
	s_mul_i32 s11, s2, s18
	s_mul_hi_u32 s18, s7, s10
	s_mul_i32 s7, s7, s10
	s_mul_hi_u32 s20, s2, s10
	s_add_u32 s7, s17, s7
	s_addc_u32 s17, 0, s18
	s_add_u32 s7, s7, s11
	s_mul_i32 s10, s2, s10
	s_addc_u32 s7, s17, s19
	s_addc_u32 s11, s20, 0
	s_add_u32 s7, s7, s10
	s_addc_u32 s10, 0, s11
	v_add_co_u32 v1, s7, v1, s7
	s_delay_alu instid0(VALU_DEP_1) | instskip(SKIP_1) | instid1(VALU_DEP_1)
	s_cmp_lg_u32 s7, 0
	s_addc_u32 s2, s2, s10
	v_readfirstlane_b32 s7, v1
	s_mul_i32 s10, s8, s2
	s_delay_alu instid0(VALU_DEP_1)
	s_mul_hi_u32 s11, s8, s7
	s_mul_i32 s9, s9, s7
	s_add_i32 s10, s11, s10
	s_mul_i32 s8, s8, s7
	s_add_i32 s10, s10, s9
	s_mul_hi_u32 s11, s2, s8
	s_mul_i32 s17, s2, s8
	s_mul_hi_u32 s8, s7, s8
	s_mul_hi_u32 s18, s7, s10
	s_mul_i32 s7, s7, s10
	s_mul_hi_u32 s9, s2, s10
	s_add_u32 s7, s8, s7
	s_addc_u32 s8, 0, s18
	s_add_u32 s7, s7, s17
	s_mul_i32 s10, s2, s10
	s_addc_u32 s7, s8, s11
	s_addc_u32 s8, s9, 0
	s_add_u32 s7, s7, s10
	s_addc_u32 s8, 0, s8
	v_add_co_u32 v1, s7, v1, s7
	s_delay_alu instid0(VALU_DEP_1) | instskip(SKIP_2) | instid1(VALU_DEP_1)
	s_cmp_lg_u32 s7, 0
	s_addc_u32 s7, s2, s8
	s_ashr_i32 s8, s3, 31
	v_readfirstlane_b32 s10, v1
	s_add_u32 s2, s6, s8
	s_mov_b32 s9, s8
	s_addc_u32 s3, s3, s8
	s_delay_alu instid0(SALU_CYCLE_1) | instskip(NEXT) | instid1(SALU_CYCLE_1)
	s_xor_b64 s[2:3], s[2:3], s[8:9]
	s_mul_i32 s17, s2, s7
	s_mul_hi_u32 s18, s2, s10
	s_mul_hi_u32 s11, s2, s7
	;; [unrolled: 1-line block ×3, first 2 shown]
	s_mul_i32 s10, s3, s10
	s_add_u32 s17, s18, s17
	s_addc_u32 s11, 0, s11
	s_mul_hi_u32 s19, s3, s7
	s_add_u32 s10, s17, s10
	s_mul_i32 s7, s3, s7
	s_addc_u32 s10, s11, s20
	s_addc_u32 s11, s19, 0
	s_add_u32 s7, s10, s7
	s_addc_u32 s10, 0, s11
	s_mul_i32 s17, s13, s7
	s_add_u32 s11, s7, 1
	v_sub_co_u32 v1, s2, s2, s17
	s_mul_hi_u32 s17, s13, s7
	s_addc_u32 s18, s10, 0
	s_mul_i32 s19, s13, s10
	s_delay_alu instid0(VALU_DEP_1)
	v_sub_co_u32 v4, s20, v1, s13
	s_add_u32 s21, s7, 2
	s_addc_u32 s22, s10, 0
	s_add_i32 s17, s17, s19
	s_cmp_lg_u32 s2, 0
	v_readfirstlane_b32 s2, v4
	s_subb_u32 s3, s3, s17
	s_cmp_lg_u32 s20, 0
	s_subb_u32 s17, s3, 0
	s_delay_alu instid0(VALU_DEP_1) | instskip(SKIP_4) | instid1(SALU_CYCLE_1)
	s_cmp_ge_u32 s2, s13
	s_cselect_b32 s2, -1, 0
	s_cmp_eq_u32 s17, 0
	v_readfirstlane_b32 s17, v1
	s_cselect_b32 s2, s2, -1
	s_cmp_lg_u32 s2, 0
	s_cselect_b32 s2, s21, s11
	s_cselect_b32 s11, s22, s18
	s_cmp_ge_u32 s17, s13
	s_cselect_b32 s17, -1, 0
	s_cmp_eq_u32 s3, 0
	s_cselect_b32 s3, s17, -1
	s_delay_alu instid0(SALU_CYCLE_1) | instskip(SKIP_2) | instid1(SALU_CYCLE_1)
	s_cmp_lg_u32 s3, 0
	s_cselect_b32 s3, s11, s10
	s_cselect_b32 s2, s2, s7
	s_xor_b64 s[2:3], s[2:3], s[8:9]
	s_delay_alu instid0(SALU_CYCLE_1)
	s_sub_u32 s2, s2, s8
	s_subb_u32 s3, s3, s8
	s_cbranch_execnz .LBB6_5
.LBB6_4:
	v_cvt_f32_u32_e32 v1, s13
	s_sub_i32 s3, 0, s13
	s_delay_alu instid0(VALU_DEP_1) | instskip(SKIP_2) | instid1(VALU_DEP_1)
	v_rcp_iflag_f32_e32 v1, v1
	s_waitcnt_depctr 0xfff
	v_mul_f32_e32 v1, 0x4f7ffffe, v1
	v_cvt_u32_f32_e32 v1, v1
	s_delay_alu instid0(VALU_DEP_1) | instskip(NEXT) | instid1(VALU_DEP_1)
	v_readfirstlane_b32 s2, v1
	s_mul_i32 s3, s3, s2
	s_delay_alu instid0(SALU_CYCLE_1) | instskip(NEXT) | instid1(SALU_CYCLE_1)
	s_mul_hi_u32 s3, s2, s3
	s_add_i32 s2, s2, s3
	s_delay_alu instid0(SALU_CYCLE_1) | instskip(NEXT) | instid1(SALU_CYCLE_1)
	s_mul_hi_u32 s2, s6, s2
	s_mul_i32 s3, s2, s13
	s_delay_alu instid0(SALU_CYCLE_1)
	s_sub_i32 s3, s6, s3
	s_add_i32 s6, s2, 1
	s_sub_i32 s7, s3, s13
	s_cmp_ge_u32 s3, s13
	s_cselect_b32 s2, s6, s2
	s_cselect_b32 s3, s7, s3
	s_add_i32 s6, s2, 1
	s_cmp_ge_u32 s3, s13
	s_mov_b32 s3, 0
	s_cselect_b32 s2, s6, s2
.LBB6_5:
	v_mov_b32_e32 v1, 0
	s_add_u32 s2, s2, 1
	s_addc_u32 s3, s3, 0
	s_mul_hi_u32 s6, s12, s2
	s_mul_i32 s3, s12, s3
	v_mad_u64_u32 v[10:11], null, s14, s15, v[0:1]
	s_mul_hi_u32 s7, s16, s14
	s_add_i32 s3, s6, s3
	s_mul_i32 s7, s7, s2
	s_mul_i32 s2, s12, s2
	s_add_i32 s3, s3, s7
	s_mov_b32 s6, exec_lo
	s_lshl_b64 s[2:3], s[2:3], 2
	s_delay_alu instid0(SALU_CYCLE_1)
	v_cmpx_gt_i64_e64 s[2:3], v[10:11]
	s_cbranch_execz .LBB6_26
; %bb.6:
	v_alignbit_b32 v14, v3, v2, 2
	v_mad_u64_u32 v[6:7], null, 0xcd9e8d57, v10, 0
	v_lshrrev_b32_e32 v15, 2, v3
	s_waitcnt vmcnt(0)
	v_dual_mov_b32 v35, v9 :: v_dual_and_b32 v26, 3, v2
	v_mad_u64_u32 v[4:5], null, 0xd2511f53, v14, 0
	v_add_co_u32 v17, null, 0x9e3779b9, v8
	v_xor3_b32 v3, v8, v7, v15
	s_delay_alu instid0(VALU_DEP_4) | instskip(SKIP_2) | instid1(VALU_DEP_4)
	v_add_co_u32 v16, null, 0xbb67ae85, v35
	v_add_co_u32 v18, null, 0x3c6ef372, v8
	v_xor_b32_e32 v1, v5, v9
	v_mad_u64_u32 v[12:13], null, 0xd2511f53, v3, 0
	v_add_co_u32 v19, null, 0x76cf5d0a, v35
	s_delay_alu instid0(VALU_DEP_3) | instskip(SKIP_2) | instid1(VALU_DEP_3)
	v_xor_b32_e32 v1, v1, v11
	v_add_co_u32 v22, null, 0x78dde6e4, v8
	v_add_co_u32 v23, null, 0xed9eba14, v35
	v_mad_u64_u32 v[20:21], null, 0xcd9e8d57, v1, 0
	v_xor3_b32 v1, v16, v13, v4
	v_add_co_u32 v24, null, 0xa9066899, v35
	v_add_co_u32 v25, null, 0x1715609d, v8
	s_delay_alu instid0(VALU_DEP_3) | instskip(SKIP_3) | instid1(VALU_DEP_3)
	v_mad_u64_u32 v[3:4], null, 0xcd9e8d57, v1, 0
	v_xor3_b32 v7, v17, v21, v6
	v_add_co_u32 v21, null, 0xdaa66d2b, v8
	v_add_co_u32 v31, null, 0x646e171e, v35
	v_mad_u64_u32 v[5:6], null, 0xd2511f53, v7, 0
	v_xor3_b32 v1, v18, v4, v20
	v_add_co_u32 v20, null, 0x32370b8f, v35
	v_add_co_u32 v33, null, 0x1fd5c5a3, v35
	s_clause 0x1
	s_load_b128 s[8:11], s[0:1], 0x38
	s_load_b64 s[6:7], s[0:1], 0x30
	s_delay_alu instid0(VALU_DEP_4) | instskip(SKIP_2) | instid1(VALU_DEP_3)
	v_xor3_b32 v4, v19, v6, v12
	v_mad_u64_u32 v[6:7], null, 0xd2511f53, v1, 0
	v_add_co_u32 v32, null, 0xf1bbcdc8, v8
	v_mad_u64_u32 v[12:13], null, 0xcd9e8d57, v4, 0
	v_add_co_u32 v35, null, 0xdb3d7428, v35
	s_delay_alu instid0(VALU_DEP_4) | instskip(SKIP_3) | instid1(VALU_DEP_3)
	v_xor3_b32 v1, v20, v7, v5
	s_add_i32 s18, s15, s16
	s_mul_i32 s0, s16, 3
	s_lshl_b32 s17, s16, 1
	v_xor3_b32 v5, v21, v13, v3
	v_mad_u64_u32 v[3:4], null, 0xcd9e8d57, v1, 0
	s_add_i32 s0, s15, s0
	v_dual_mov_b32 v34, v10 :: v_dual_add_nc_u32 v27, 0x8ff34781, v8
	s_delay_alu instid0(VALU_DEP_3) | instskip(SKIP_1) | instid1(VALU_DEP_4)
	v_mad_u64_u32 v[29:30], null, 0xd2511f53, v5, 0
	v_add_nc_u32_e32 v28, 0x96a522ad, v9
	v_xor3_b32 v1, v22, v4, v12
	s_mov_b32 s1, 0
	s_waitcnt lgkmcnt(0)
	s_lshl_b32 s11, s12, 1
	s_delay_alu instid0(VALU_DEP_3) | instskip(SKIP_2) | instid1(VALU_DEP_3)
	v_xor3_b32 v12, v23, v30, v6
	v_mad_u64_u32 v[4:5], null, 0xd2511f53, v1, 0
	v_add_co_u32 v30, null, 0xb54cda56, v8
	v_mad_u64_u32 v[6:7], null, 0xcd9e8d57, v12, 0
	s_delay_alu instid0(VALU_DEP_3) | instskip(SKIP_1) | instid1(VALU_DEP_3)
	v_xor3_b32 v5, v24, v5, v29
	v_add_co_u32 v29, null, 0x5384540f, v8
	v_xor3_b32 v3, v25, v7, v3
	s_delay_alu instid0(VALU_DEP_3) | instskip(NEXT) | instid1(VALU_DEP_2)
	v_mad_u64_u32 v[1:2], null, 0xcd9e8d57, v5, 0
	v_mad_u64_u32 v[12:13], null, 0xd2511f53, v3, 0
	s_delay_alu instid0(VALU_DEP_2) | instskip(NEXT) | instid1(VALU_DEP_3)
	v_xor3_b32 v5, v30, v2, v6
	v_mad_u64_u32 v[2:3], null, s15, s14, v[0:1]
	s_add_i32 s15, s15, s17
	s_delay_alu instid0(VALU_DEP_3) | instskip(NEXT) | instid1(VALU_DEP_3)
	v_xor3_b32 v7, v31, v13, v4
	v_mad_u64_u32 v[3:4], null, 0xd2511f53, v5, 0
	s_delay_alu instid0(VALU_DEP_2) | instskip(NEXT) | instid1(VALU_DEP_4)
	v_mad_u64_u32 v[5:6], null, 0xcd9e8d57, v7, 0
	v_mul_lo_u32 v36, s8, v2
	s_delay_alu instid0(VALU_DEP_3) | instskip(NEXT) | instid1(VALU_DEP_3)
	v_xor3_b32 v4, v33, v4, v12
	v_xor3_b32 v1, v29, v6, v1
	s_delay_alu instid0(VALU_DEP_2) | instskip(NEXT) | instid1(VALU_DEP_2)
	v_mad_u64_u32 v[12:13], null, 0xcd9e8d57, v4, 0
	v_mad_u64_u32 v[40:41], null, 0xd2511f53, v1, 0
	;; [unrolled: 1-line block ×3, first 2 shown]
	s_delay_alu instid0(VALU_DEP_3) | instskip(SKIP_2) | instid1(VALU_DEP_4)
	v_xor3_b32 v5, v32, v13, v5
	v_mad_u64_u32 v[37:38], null, s0, s14, v[0:1]
	s_mul_i32 s0, s16, s8
	v_xor3_b32 v7, v35, v41, v3
	v_mad_u64_u32 v[3:4], null, s15, s14, v[0:1]
	v_mad_u64_u32 v[0:1], null, 0xd2511f53, v5, 0
	s_delay_alu instid0(VALU_DEP_3)
	v_mad_u64_u32 v[4:5], null, 0xcd9e8d57, v7, 0
	v_mul_lo_u32 v37, s8, v37
	v_mul_lo_u32 v39, s8, v6
	;; [unrolled: 1-line block ×3, first 2 shown]
	s_mul_i32 s0, s0, s14
	v_mov_b32_e32 v6, v0
	s_mul_i32 s8, s12, 3
	v_xor3_b32 v3, v5, v12, v27
	v_xor3_b32 v5, v1, v40, v28
	v_mov_b32_e32 v40, v11
	s_lshl_b32 s14, s0, 2
	s_mov_b32 s15, 0
	s_branch .LBB6_8
.LBB6_7:                                ;   in Loop: Header=BB6_8 Depth=1
	s_or_b32 exec_lo, exec_lo, s0
	v_add_co_u32 v10, vcc_lo, v10, s13
	v_add_co_ci_u32_e32 v11, vcc_lo, 0, v11, vcc_lo
	v_mov_b32_e32 v3, v12
	s_add_i32 s15, s15, s14
	s_waitcnt_vscnt null, 0x0
	s_delay_alu instid0(VALU_DEP_2)
	v_cmp_le_i64_e32 vcc_lo, s[2:3], v[10:11]
	s_barrier
	v_mov_b32_e32 v6, v3
	v_dual_mov_b32 v5, v2 :: v_dual_mov_b32 v4, v1
	v_mov_b32_e32 v3, v0
	s_or_b32 s1, vcc_lo, s1
	buffer_gl0_inv
	s_and_not1_b32 exec_lo, exec_lo, s1
	s_cbranch_execz .LBB6_26
.LBB6_8:                                ; =>This Inner Loop Header: Depth=1
	v_add_co_u32 v14, vcc_lo, v14, 1
	s_delay_alu instid0(VALU_DEP_1) | instskip(SKIP_2) | instid1(VALU_DEP_1)
	v_cndmask_b32_e64 v0, 0, 1, vcc_lo
	v_add_co_ci_u32_e32 v15, vcc_lo, 0, v15, vcc_lo
	s_mov_b32 s0, exec_lo
	v_cmp_eq_u32_e32 vcc_lo, 0, v15
	s_delay_alu instid0(VALU_DEP_3) | instskip(NEXT) | instid1(VALU_DEP_1)
	v_cndmask_b32_e32 v0, 0, v0, vcc_lo
	v_add_nc_u32_e32 v34, v0, v34
	s_delay_alu instid0(VALU_DEP_1) | instskip(SKIP_2) | instid1(VALU_DEP_2)
	v_cmp_eq_u32_e32 vcc_lo, 0, v34
	v_mad_u64_u32 v[12:13], null, 0xcd9e8d57, v34, 0
	v_cndmask_b32_e32 v0, 0, v0, vcc_lo
	v_xor3_b32 v7, v13, v8, v15
	s_delay_alu instid0(VALU_DEP_2) | instskip(SKIP_1) | instid1(VALU_DEP_1)
	v_add_nc_u32_e32 v40, v0, v40
	v_mad_u64_u32 v[0:1], null, 0xd2511f53, v14, 0
	v_xor_b32_e32 v1, v1, v9
	s_delay_alu instid0(VALU_DEP_1) | instskip(SKIP_1) | instid1(VALU_DEP_2)
	v_xor_b32_e32 v13, v40, v1
	v_mad_u64_u32 v[1:2], null, 0xd2511f53, v7, 0
	v_mad_u64_u32 v[41:42], null, 0xcd9e8d57, v13, 0
	s_delay_alu instid0(VALU_DEP_2) | instskip(NEXT) | instid1(VALU_DEP_2)
	v_xor3_b32 v0, v16, v2, v0
	v_xor3_b32 v2, v17, v42, v12
	s_delay_alu instid0(VALU_DEP_2) | instskip(NEXT) | instid1(VALU_DEP_2)
	v_mad_u64_u32 v[12:13], null, 0xcd9e8d57, v0, 0
	v_mad_u64_u32 v[42:43], null, 0xd2511f53, v2, 0
	s_delay_alu instid0(VALU_DEP_2) | instskip(NEXT) | instid1(VALU_DEP_2)
	v_xor3_b32 v2, v18, v13, v41
	v_xor3_b32 v7, v19, v43, v1
	s_delay_alu instid0(VALU_DEP_2) | instskip(NEXT) | instid1(VALU_DEP_2)
	;; [unrolled: 6-line block ×8, first 2 shown]
	v_mad_u64_u32 v[12:13], null, 0xd2511f53, v0, 0
	v_mad_u64_u32 v[1:2], null, 0xcd9e8d57, v7, 0
	s_delay_alu instid0(VALU_DEP_2) | instskip(NEXT) | instid1(VALU_DEP_2)
	v_xor3_b32 v7, v13, v44, v28
	v_xor3_b32 v0, v2, v42, v27
	s_delay_alu instid0(VALU_DEP_2)
	v_mov_b32_e32 v2, v7
	v_cmpx_lt_i32_e32 1, v26
	s_xor_b32 s0, exec_lo, s0
	s_cbranch_execz .LBB6_14
; %bb.9:                                ;   in Loop: Header=BB6_8 Depth=1
	s_mov_b32 s16, exec_lo
	v_cmpx_lt_i32_e32 2, v26
	s_xor_b32 s16, exec_lo, s16
; %bb.10:                               ;   in Loop: Header=BB6_8 Depth=1
	v_dual_mov_b32 v4, v6 :: v_dual_mov_b32 v5, v0
	v_mov_b32_e32 v6, v1
	s_delay_alu instid0(VALU_DEP_2) | instskip(NEXT) | instid1(VALU_DEP_3)
	v_mov_b32_e32 v3, v4
	v_mov_b32_e32 v4, v5
	s_delay_alu instid0(VALU_DEP_3)
	v_mov_b32_e32 v5, v6
	v_mov_b32_e32 v6, v7
; %bb.11:                               ;   in Loop: Header=BB6_8 Depth=1
	s_and_not1_saveexec_b32 s16, s16
; %bb.12:                               ;   in Loop: Header=BB6_8 Depth=1
	s_delay_alu instid0(VALU_DEP_1)
	v_dual_mov_b32 v3, v5 :: v_dual_mov_b32 v4, v6
	v_dual_mov_b32 v5, v0 :: v_dual_mov_b32 v6, v1
; %bb.13:                               ;   in Loop: Header=BB6_8 Depth=1
	s_or_b32 exec_lo, exec_lo, s16
.LBB6_14:                               ;   in Loop: Header=BB6_8 Depth=1
	s_and_not1_saveexec_b32 s0, s0
	s_cbranch_execz .LBB6_18
; %bb.15:                               ;   in Loop: Header=BB6_8 Depth=1
	s_mov_b32 s16, exec_lo
	v_cmpx_eq_u32_e32 1, v26
; %bb.16:                               ;   in Loop: Header=BB6_8 Depth=1
	v_dual_mov_b32 v3, v4 :: v_dual_mov_b32 v4, v5
	v_dual_mov_b32 v5, v6 :: v_dual_mov_b32 v6, v0
; %bb.17:                               ;   in Loop: Header=BB6_8 Depth=1
	s_or_b32 exec_lo, exec_lo, s16
.LBB6_18:                               ;   in Loop: Header=BB6_8 Depth=1
	s_delay_alu instid0(SALU_CYCLE_1) | instskip(NEXT) | instid1(VALU_DEP_2)
	s_or_b32 exec_lo, exec_lo, s0
	v_cvt_f32_u32_e32 v3, v3
	v_cvt_f32_u32_e32 v4, v4
	s_delay_alu instid0(VALU_DEP_1) | instskip(NEXT) | instid1(VALU_DEP_1)
	v_fmaak_f32 v4, 0x30c90fdb, v4, 0x30c90fdb
	v_dual_fmaak_f32 v3, 0x2f800000, v3, 0x2f800000 :: v_dual_mul_f32 v4, 0.15915494, v4
	s_delay_alu instid0(VALU_DEP_1) | instskip(SKIP_1) | instid1(VALU_DEP_1)
	v_cmp_gt_f32_e32 vcc_lo, 0x800000, v3
	v_cndmask_b32_e64 v7, 1.0, 0x4f800000, vcc_lo
	v_mul_f32_e32 v3, v3, v7
	s_delay_alu instid0(VALU_DEP_1) | instskip(SKIP_2) | instid1(VALU_DEP_1)
	v_log_f32_e32 v3, v3
	s_waitcnt_depctr 0xfff
	v_mul_f32_e32 v7, 0x3f317217, v3
	v_fma_f32 v13, 0x3f317217, v3, -v7
	s_delay_alu instid0(VALU_DEP_1) | instskip(NEXT) | instid1(VALU_DEP_1)
	v_fmac_f32_e32 v13, 0x3377d1cf, v3
	v_add_f32_e32 v7, v7, v13
	v_cndmask_b32_e64 v13, 0, 0x41b17218, vcc_lo
	v_cmp_gt_f32_e64 vcc_lo, 0x7f800000, |v3|
	s_delay_alu instid0(VALU_DEP_3) | instskip(NEXT) | instid1(VALU_DEP_1)
	v_cndmask_b32_e32 v3, v3, v7, vcc_lo
	v_sub_f32_e32 v3, v3, v13
	s_delay_alu instid0(VALU_DEP_1) | instskip(NEXT) | instid1(VALU_DEP_1)
	v_mul_f32_e32 v3, -2.0, v3
	v_mul_f32_e32 v7, 0x4f800000, v3
	v_cmp_gt_f32_e32 vcc_lo, 0xf800000, v3
	s_delay_alu instid0(VALU_DEP_2) | instskip(NEXT) | instid1(VALU_DEP_1)
	v_cndmask_b32_e32 v3, v3, v7, vcc_lo
	v_sqrt_f32_e32 v7, v3
	s_waitcnt_depctr 0xfff
	v_add_nc_u32_e32 v13, -1, v7
	v_add_nc_u32_e32 v41, 1, v7
	s_delay_alu instid0(VALU_DEP_2) | instskip(NEXT) | instid1(VALU_DEP_2)
	v_fma_f32 v42, -v13, v7, v3
	v_fma_f32 v43, -v41, v7, v3
	s_delay_alu instid0(VALU_DEP_2) | instskip(NEXT) | instid1(VALU_DEP_1)
	v_cmp_ge_f32_e64 s0, 0, v42
	v_cndmask_b32_e64 v7, v7, v13, s0
	s_delay_alu instid0(VALU_DEP_3) | instskip(NEXT) | instid1(VALU_DEP_1)
	v_cmp_lt_f32_e64 s0, 0, v43
	v_cndmask_b32_e64 v7, v7, v41, s0
	v_cmp_class_f32_e64 s0, v3, 0x260
	s_delay_alu instid0(VALU_DEP_2) | instskip(NEXT) | instid1(VALU_DEP_1)
	v_mul_f32_e32 v13, 0x37800000, v7
	v_cndmask_b32_e32 v7, v7, v13, vcc_lo
	s_delay_alu instid0(VALU_DEP_1)
	v_cndmask_b32_e64 v3, v7, v3, s0
	s_mov_b32 s0, exec_lo
	v_cmpx_gt_i64_e64 s[4:5], v[10:11]
	s_cbranch_execz .LBB6_20
; %bb.19:                               ;   in Loop: Header=BB6_8 Depth=1
	v_sin_f32_e32 v7, v4
	s_waitcnt_depctr 0xfff
	v_mul_f32_e32 v7, v7, v3
	s_delay_alu instid0(VALU_DEP_1) | instskip(NEXT) | instid1(VALU_DEP_1)
	v_fma_f32 v7, s10, v7, s9
	v_mul_f32_e32 v13, 0x3fb8aa3b, v7
	v_cmp_ngt_f32_e32 vcc_lo, 0xc2ce8ed0, v7
	s_delay_alu instid0(VALU_DEP_2) | instskip(SKIP_1) | instid1(VALU_DEP_2)
	v_fma_f32 v41, 0x3fb8aa3b, v7, -v13
	v_rndne_f32_e32 v42, v13
	v_fmac_f32_e32 v41, 0x32a5705f, v7
	s_delay_alu instid0(VALU_DEP_2) | instskip(NEXT) | instid1(VALU_DEP_1)
	v_sub_f32_e32 v13, v13, v42
	v_add_f32_e32 v13, v13, v41
	v_cvt_i32_f32_e32 v41, v42
	v_add_nc_u32_e32 v42, s15, v36
	s_delay_alu instid0(VALU_DEP_3) | instskip(NEXT) | instid1(VALU_DEP_1)
	v_exp_f32_e32 v13, v13
	v_ashrrev_i32_e32 v43, 31, v42
	s_waitcnt_depctr 0xfff
	v_ldexp_f32 v13, v13, v41
	s_delay_alu instid0(VALU_DEP_1) | instskip(SKIP_3) | instid1(VALU_DEP_4)
	v_cndmask_b32_e32 v13, 0, v13, vcc_lo
	v_add_co_u32 v41, vcc_lo, s6, v42
	v_add_co_ci_u32_e32 v42, vcc_lo, s7, v43, vcc_lo
	v_cmp_nlt_f32_e32 vcc_lo, 0x42b17218, v7
	v_cndmask_b32_e32 v7, 0x7f800000, v13, vcc_lo
	global_store_b32 v[41:42], v7, off
.LBB6_20:                               ;   in Loop: Header=BB6_8 Depth=1
	s_or_b32 exec_lo, exec_lo, s0
	v_add_co_u32 v41, vcc_lo, s12, v10
	v_add_co_ci_u32_e32 v42, vcc_lo, 0, v11, vcc_lo
	s_mov_b32 s0, exec_lo
	s_delay_alu instid0(VALU_DEP_1)
	v_cmpx_gt_i64_e64 s[4:5], v[41:42]
	s_cbranch_execz .LBB6_22
; %bb.21:                               ;   in Loop: Header=BB6_8 Depth=1
	v_cos_f32_e32 v4, v4
	s_waitcnt_depctr 0xfff
	v_mul_f32_e32 v3, v4, v3
	s_delay_alu instid0(VALU_DEP_1) | instskip(NEXT) | instid1(VALU_DEP_1)
	v_fma_f32 v7, s10, v3, s9
	v_mul_f32_e32 v3, 0x3fb8aa3b, v7
	v_cmp_ngt_f32_e32 vcc_lo, 0xc2ce8ed0, v7
	s_delay_alu instid0(VALU_DEP_2) | instskip(SKIP_1) | instid1(VALU_DEP_1)
	v_fma_f32 v4, 0x3fb8aa3b, v7, -v3
	v_rndne_f32_e32 v13, v3
	v_dual_fmac_f32 v4, 0x32a5705f, v7 :: v_dual_sub_f32 v3, v3, v13
	s_delay_alu instid0(VALU_DEP_1) | instskip(SKIP_2) | instid1(VALU_DEP_3)
	v_add_f32_e32 v3, v3, v4
	v_cvt_i32_f32_e32 v4, v13
	v_add_nc_u32_e32 v13, s15, v39
	v_exp_f32_e32 v3, v3
	s_waitcnt_depctr 0xfff
	v_ldexp_f32 v3, v3, v4
	v_ashrrev_i32_e32 v4, 31, v13
	s_delay_alu instid0(VALU_DEP_2) | instskip(SKIP_1) | instid1(VALU_DEP_3)
	v_cndmask_b32_e32 v41, 0, v3, vcc_lo
	v_add_co_u32 v3, vcc_lo, s6, v13
	v_add_co_ci_u32_e32 v4, vcc_lo, s7, v4, vcc_lo
	v_cmp_nlt_f32_e32 vcc_lo, 0x42b17218, v7
	s_delay_alu instid0(VALU_DEP_4)
	v_cndmask_b32_e32 v7, 0x7f800000, v41, vcc_lo
	global_store_b32 v[3:4], v7, off
.LBB6_22:                               ;   in Loop: Header=BB6_8 Depth=1
	s_or_b32 exec_lo, exec_lo, s0
	v_cvt_f32_u32_e32 v3, v5
	v_cvt_f32_u32_e32 v6, v6
	s_delay_alu instid0(VALU_DEP_2) | instskip(NEXT) | instid1(VALU_DEP_2)
	v_fmaak_f32 v3, 0x2f800000, v3, 0x2f800000
	v_fmaak_f32 v6, 0x30c90fdb, v6, 0x30c90fdb
	s_delay_alu instid0(VALU_DEP_2) | instskip(SKIP_1) | instid1(VALU_DEP_1)
	v_cmp_gt_f32_e32 vcc_lo, 0x800000, v3
	v_cndmask_b32_e64 v4, 1.0, 0x4f800000, vcc_lo
	v_mul_f32_e32 v3, v3, v4
	s_delay_alu instid0(VALU_DEP_1) | instskip(SKIP_2) | instid1(VALU_DEP_1)
	v_log_f32_e32 v3, v3
	s_waitcnt_depctr 0xfff
	v_mul_f32_e32 v4, 0x3f317217, v3
	v_fma_f32 v5, 0x3f317217, v3, -v4
	s_delay_alu instid0(VALU_DEP_1) | instskip(NEXT) | instid1(VALU_DEP_1)
	v_fmac_f32_e32 v5, 0x3377d1cf, v3
	v_add_f32_e32 v4, v4, v5
	v_cndmask_b32_e64 v5, 0, 0x41b17218, vcc_lo
	v_cmp_gt_f32_e64 vcc_lo, 0x7f800000, |v3|
	s_delay_alu instid0(VALU_DEP_3) | instskip(NEXT) | instid1(VALU_DEP_1)
	v_cndmask_b32_e32 v3, v3, v4, vcc_lo
	v_sub_f32_e32 v3, v3, v5
	s_delay_alu instid0(VALU_DEP_1) | instskip(NEXT) | instid1(VALU_DEP_1)
	v_mul_f32_e32 v3, -2.0, v3
	v_cmp_gt_f32_e32 vcc_lo, 0xf800000, v3
	v_mul_f32_e32 v4, 0x4f800000, v3
	s_delay_alu instid0(VALU_DEP_1) | instskip(NEXT) | instid1(VALU_DEP_1)
	v_cndmask_b32_e32 v5, v3, v4, vcc_lo
	v_sqrt_f32_e32 v3, v5
	s_waitcnt_depctr 0xfff
	v_add_nc_u32_e32 v4, -1, v3
	v_add_nc_u32_e32 v7, 1, v3
	s_delay_alu instid0(VALU_DEP_2) | instskip(NEXT) | instid1(VALU_DEP_2)
	v_fma_f32 v13, -v4, v3, v5
	v_fma_f32 v41, -v7, v3, v5
	s_delay_alu instid0(VALU_DEP_2) | instskip(NEXT) | instid1(VALU_DEP_1)
	v_cmp_ge_f32_e64 s0, 0, v13
	v_cndmask_b32_e64 v3, v3, v4, s0
	s_delay_alu instid0(VALU_DEP_3) | instskip(NEXT) | instid1(VALU_DEP_1)
	v_cmp_lt_f32_e64 s0, 0, v41
	v_cndmask_b32_e64 v7, v3, v7, s0
	v_add_co_u32 v3, s0, s11, v10
	s_delay_alu instid0(VALU_DEP_1) | instskip(NEXT) | instid1(VALU_DEP_3)
	v_add_co_ci_u32_e64 v4, s0, 0, v11, s0
	v_mul_f32_e32 v13, 0x37800000, v7
	v_cmp_class_f32_e64 s0, v5, 0x260
	s_delay_alu instid0(VALU_DEP_2) | instskip(NEXT) | instid1(VALU_DEP_4)
	v_cndmask_b32_e32 v7, v7, v13, vcc_lo
	v_cmp_gt_i64_e32 vcc_lo, s[4:5], v[3:4]
	v_mul_f32_e32 v4, 0.15915494, v6
	s_delay_alu instid0(VALU_DEP_3)
	v_cndmask_b32_e64 v3, v7, v5, s0
	s_and_saveexec_b32 s0, vcc_lo
	s_cbranch_execz .LBB6_24
; %bb.23:                               ;   in Loop: Header=BB6_8 Depth=1
	s_delay_alu instid0(VALU_DEP_2) | instskip(SKIP_2) | instid1(VALU_DEP_1)
	v_sin_f32_e32 v5, v4
	s_waitcnt_depctr 0xfff
	v_mul_f32_e32 v5, v5, v3
	v_fma_f32 v7, s10, v5, s9
	s_delay_alu instid0(VALU_DEP_1) | instskip(SKIP_1) | instid1(VALU_DEP_2)
	v_mul_f32_e32 v5, 0x3fb8aa3b, v7
	v_cmp_ngt_f32_e32 vcc_lo, 0xc2ce8ed0, v7
	v_fma_f32 v6, 0x3fb8aa3b, v7, -v5
	v_rndne_f32_e32 v13, v5
	s_delay_alu instid0(VALU_DEP_1) | instskip(NEXT) | instid1(VALU_DEP_1)
	v_dual_fmac_f32 v6, 0x32a5705f, v7 :: v_dual_sub_f32 v5, v5, v13
	v_add_f32_e32 v5, v5, v6
	v_cvt_i32_f32_e32 v6, v13
	v_add_nc_u32_e32 v13, s15, v38
	s_delay_alu instid0(VALU_DEP_3) | instskip(SKIP_3) | instid1(VALU_DEP_2)
	v_exp_f32_e32 v5, v5
	s_waitcnt_depctr 0xfff
	v_ldexp_f32 v5, v5, v6
	v_ashrrev_i32_e32 v6, 31, v13
	v_cndmask_b32_e32 v41, 0, v5, vcc_lo
	v_add_co_u32 v5, vcc_lo, s6, v13
	s_delay_alu instid0(VALU_DEP_3) | instskip(SKIP_1) | instid1(VALU_DEP_4)
	v_add_co_ci_u32_e32 v6, vcc_lo, s7, v6, vcc_lo
	v_cmp_nlt_f32_e32 vcc_lo, 0x42b17218, v7
	v_cndmask_b32_e32 v7, 0x7f800000, v41, vcc_lo
	global_store_b32 v[5:6], v7, off
.LBB6_24:                               ;   in Loop: Header=BB6_8 Depth=1
	s_or_b32 exec_lo, exec_lo, s0
	v_add_co_u32 v5, vcc_lo, s8, v10
	v_add_co_ci_u32_e32 v6, vcc_lo, 0, v11, vcc_lo
	s_mov_b32 s0, exec_lo
	s_delay_alu instid0(VALU_DEP_1)
	v_cmpx_gt_i64_e64 s[4:5], v[5:6]
	s_cbranch_execz .LBB6_7
; %bb.25:                               ;   in Loop: Header=BB6_8 Depth=1
	v_cos_f32_e32 v4, v4
	s_waitcnt_depctr 0xfff
	v_mul_f32_e32 v3, v4, v3
	s_delay_alu instid0(VALU_DEP_1) | instskip(NEXT) | instid1(VALU_DEP_1)
	v_fma_f32 v5, s10, v3, s9
	v_mul_f32_e32 v3, 0x3fb8aa3b, v5
	v_cmp_ngt_f32_e32 vcc_lo, 0xc2ce8ed0, v5
	s_delay_alu instid0(VALU_DEP_2) | instskip(SKIP_1) | instid1(VALU_DEP_1)
	v_fma_f32 v4, 0x3fb8aa3b, v5, -v3
	v_rndne_f32_e32 v6, v3
	v_dual_fmac_f32 v4, 0x32a5705f, v5 :: v_dual_sub_f32 v3, v3, v6
	s_delay_alu instid0(VALU_DEP_1) | instskip(SKIP_2) | instid1(VALU_DEP_3)
	v_add_f32_e32 v3, v3, v4
	v_cvt_i32_f32_e32 v4, v6
	v_add_nc_u32_e32 v6, s15, v37
	v_exp_f32_e32 v3, v3
	s_waitcnt_depctr 0xfff
	v_ldexp_f32 v3, v3, v4
	v_ashrrev_i32_e32 v4, 31, v6
	s_delay_alu instid0(VALU_DEP_2) | instskip(SKIP_1) | instid1(VALU_DEP_3)
	v_cndmask_b32_e32 v7, 0, v3, vcc_lo
	v_add_co_u32 v3, vcc_lo, s6, v6
	v_add_co_ci_u32_e32 v4, vcc_lo, s7, v4, vcc_lo
	v_cmp_nlt_f32_e32 vcc_lo, 0x42b17218, v5
	s_delay_alu instid0(VALU_DEP_4)
	v_cndmask_b32_e32 v5, 0x7f800000, v7, vcc_lo
	global_store_b32 v[3:4], v5, off
	s_branch .LBB6_7
.LBB6_26:
	s_endpgm
.LBB6_27:
                                        ; implicit-def: $sgpr2_sgpr3
	s_branch .LBB6_4
	.section	.rodata,"a",@progbits
	.p2align	6, 0x0
	.amdhsa_kernel _ZN2at6native12_GLOBAL__N_143distribution_elementwise_grid_stride_kernelIfLi4EZNS0_9templates4cuda20normal_and_transformIffPNS_17CUDAGeneratorImplEZZZNS4_17log_normal_kernelIS7_EEvRNS_18TensorIteratorBaseEddT_ENKUlvE_clEvENKUlvE0_clEvEUlfE_EEvSA_T1_T2_EUlP25hiprandStatePhilox4_32_10E0_ZNS1_27distribution_nullary_kernelIff15HIP_vector_typeIfLj4EES7_SJ_SE_EEvSA_SG_RKT3_T4_EUlifE_EEvlNS_15PhiloxCudaStateESF_SG_
		.amdhsa_group_segment_fixed_size 0
		.amdhsa_private_segment_fixed_size 0
		.amdhsa_kernarg_size 328
		.amdhsa_user_sgpr_count 15
		.amdhsa_user_sgpr_dispatch_ptr 0
		.amdhsa_user_sgpr_queue_ptr 0
		.amdhsa_user_sgpr_kernarg_segment_ptr 1
		.amdhsa_user_sgpr_dispatch_id 0
		.amdhsa_user_sgpr_private_segment_size 0
		.amdhsa_wavefront_size32 1
		.amdhsa_uses_dynamic_stack 0
		.amdhsa_enable_private_segment 0
		.amdhsa_system_sgpr_workgroup_id_x 1
		.amdhsa_system_sgpr_workgroup_id_y 0
		.amdhsa_system_sgpr_workgroup_id_z 0
		.amdhsa_system_sgpr_workgroup_info 0
		.amdhsa_system_vgpr_workitem_id 0
		.amdhsa_next_free_vgpr 46
		.amdhsa_next_free_sgpr 23
		.amdhsa_reserve_vcc 1
		.amdhsa_float_round_mode_32 0
		.amdhsa_float_round_mode_16_64 0
		.amdhsa_float_denorm_mode_32 3
		.amdhsa_float_denorm_mode_16_64 3
		.amdhsa_dx10_clamp 1
		.amdhsa_ieee_mode 1
		.amdhsa_fp16_overflow 0
		.amdhsa_workgroup_processor_mode 1
		.amdhsa_memory_ordered 1
		.amdhsa_forward_progress 0
		.amdhsa_shared_vgpr_count 0
		.amdhsa_exception_fp_ieee_invalid_op 0
		.amdhsa_exception_fp_denorm_src 0
		.amdhsa_exception_fp_ieee_div_zero 0
		.amdhsa_exception_fp_ieee_overflow 0
		.amdhsa_exception_fp_ieee_underflow 0
		.amdhsa_exception_fp_ieee_inexact 0
		.amdhsa_exception_int_div_zero 0
	.end_amdhsa_kernel
	.section	.text._ZN2at6native12_GLOBAL__N_143distribution_elementwise_grid_stride_kernelIfLi4EZNS0_9templates4cuda20normal_and_transformIffPNS_17CUDAGeneratorImplEZZZNS4_17log_normal_kernelIS7_EEvRNS_18TensorIteratorBaseEddT_ENKUlvE_clEvENKUlvE0_clEvEUlfE_EEvSA_T1_T2_EUlP25hiprandStatePhilox4_32_10E0_ZNS1_27distribution_nullary_kernelIff15HIP_vector_typeIfLj4EES7_SJ_SE_EEvSA_SG_RKT3_T4_EUlifE_EEvlNS_15PhiloxCudaStateESF_SG_,"axG",@progbits,_ZN2at6native12_GLOBAL__N_143distribution_elementwise_grid_stride_kernelIfLi4EZNS0_9templates4cuda20normal_and_transformIffPNS_17CUDAGeneratorImplEZZZNS4_17log_normal_kernelIS7_EEvRNS_18TensorIteratorBaseEddT_ENKUlvE_clEvENKUlvE0_clEvEUlfE_EEvSA_T1_T2_EUlP25hiprandStatePhilox4_32_10E0_ZNS1_27distribution_nullary_kernelIff15HIP_vector_typeIfLj4EES7_SJ_SE_EEvSA_SG_RKT3_T4_EUlifE_EEvlNS_15PhiloxCudaStateESF_SG_,comdat
.Lfunc_end6:
	.size	_ZN2at6native12_GLOBAL__N_143distribution_elementwise_grid_stride_kernelIfLi4EZNS0_9templates4cuda20normal_and_transformIffPNS_17CUDAGeneratorImplEZZZNS4_17log_normal_kernelIS7_EEvRNS_18TensorIteratorBaseEddT_ENKUlvE_clEvENKUlvE0_clEvEUlfE_EEvSA_T1_T2_EUlP25hiprandStatePhilox4_32_10E0_ZNS1_27distribution_nullary_kernelIff15HIP_vector_typeIfLj4EES7_SJ_SE_EEvSA_SG_RKT3_T4_EUlifE_EEvlNS_15PhiloxCudaStateESF_SG_, .Lfunc_end6-_ZN2at6native12_GLOBAL__N_143distribution_elementwise_grid_stride_kernelIfLi4EZNS0_9templates4cuda20normal_and_transformIffPNS_17CUDAGeneratorImplEZZZNS4_17log_normal_kernelIS7_EEvRNS_18TensorIteratorBaseEddT_ENKUlvE_clEvENKUlvE0_clEvEUlfE_EEvSA_T1_T2_EUlP25hiprandStatePhilox4_32_10E0_ZNS1_27distribution_nullary_kernelIff15HIP_vector_typeIfLj4EES7_SJ_SE_EEvSA_SG_RKT3_T4_EUlifE_EEvlNS_15PhiloxCudaStateESF_SG_
                                        ; -- End function
	.section	.AMDGPU.csdata,"",@progbits
; Kernel info:
; codeLenInByte = 3848
; NumSgprs: 25
; NumVgprs: 46
; ScratchSize: 0
; MemoryBound: 0
; FloatMode: 240
; IeeeMode: 1
; LDSByteSize: 0 bytes/workgroup (compile time only)
; SGPRBlocks: 3
; VGPRBlocks: 5
; NumSGPRsForWavesPerEU: 25
; NumVGPRsForWavesPerEU: 46
; Occupancy: 16
; WaveLimiterHint : 0
; COMPUTE_PGM_RSRC2:SCRATCH_EN: 0
; COMPUTE_PGM_RSRC2:USER_SGPR: 15
; COMPUTE_PGM_RSRC2:TRAP_HANDLER: 0
; COMPUTE_PGM_RSRC2:TGID_X_EN: 1
; COMPUTE_PGM_RSRC2:TGID_Y_EN: 0
; COMPUTE_PGM_RSRC2:TGID_Z_EN: 0
; COMPUTE_PGM_RSRC2:TIDIG_COMP_CNT: 0
	.section	.text._ZN2at6native12_GLOBAL__N_143distribution_elementwise_grid_stride_kernelIfLi4EZNS0_9templates4cuda20normal_and_transformIffPNS_17CUDAGeneratorImplEZZZNS4_17log_normal_kernelIS7_EEvRNS_18TensorIteratorBaseEddT_ENKUlvE_clEvENKUlvE0_clEvEUlfE_EEvSA_T1_T2_EUlP25hiprandStatePhilox4_32_10E0_ZNS1_27distribution_nullary_kernelIff15HIP_vector_typeIfLj4EES7_SJ_SE_EEvSA_SG_RKT3_T4_EUlifE0_EEvlNS_15PhiloxCudaStateESF_SG_,"axG",@progbits,_ZN2at6native12_GLOBAL__N_143distribution_elementwise_grid_stride_kernelIfLi4EZNS0_9templates4cuda20normal_and_transformIffPNS_17CUDAGeneratorImplEZZZNS4_17log_normal_kernelIS7_EEvRNS_18TensorIteratorBaseEddT_ENKUlvE_clEvENKUlvE0_clEvEUlfE_EEvSA_T1_T2_EUlP25hiprandStatePhilox4_32_10E0_ZNS1_27distribution_nullary_kernelIff15HIP_vector_typeIfLj4EES7_SJ_SE_EEvSA_SG_RKT3_T4_EUlifE0_EEvlNS_15PhiloxCudaStateESF_SG_,comdat
	.globl	_ZN2at6native12_GLOBAL__N_143distribution_elementwise_grid_stride_kernelIfLi4EZNS0_9templates4cuda20normal_and_transformIffPNS_17CUDAGeneratorImplEZZZNS4_17log_normal_kernelIS7_EEvRNS_18TensorIteratorBaseEddT_ENKUlvE_clEvENKUlvE0_clEvEUlfE_EEvSA_T1_T2_EUlP25hiprandStatePhilox4_32_10E0_ZNS1_27distribution_nullary_kernelIff15HIP_vector_typeIfLj4EES7_SJ_SE_EEvSA_SG_RKT3_T4_EUlifE0_EEvlNS_15PhiloxCudaStateESF_SG_ ; -- Begin function _ZN2at6native12_GLOBAL__N_143distribution_elementwise_grid_stride_kernelIfLi4EZNS0_9templates4cuda20normal_and_transformIffPNS_17CUDAGeneratorImplEZZZNS4_17log_normal_kernelIS7_EEvRNS_18TensorIteratorBaseEddT_ENKUlvE_clEvENKUlvE0_clEvEUlfE_EEvSA_T1_T2_EUlP25hiprandStatePhilox4_32_10E0_ZNS1_27distribution_nullary_kernelIff15HIP_vector_typeIfLj4EES7_SJ_SE_EEvSA_SG_RKT3_T4_EUlifE0_EEvlNS_15PhiloxCudaStateESF_SG_
	.p2align	8
	.type	_ZN2at6native12_GLOBAL__N_143distribution_elementwise_grid_stride_kernelIfLi4EZNS0_9templates4cuda20normal_and_transformIffPNS_17CUDAGeneratorImplEZZZNS4_17log_normal_kernelIS7_EEvRNS_18TensorIteratorBaseEddT_ENKUlvE_clEvENKUlvE0_clEvEUlfE_EEvSA_T1_T2_EUlP25hiprandStatePhilox4_32_10E0_ZNS1_27distribution_nullary_kernelIff15HIP_vector_typeIfLj4EES7_SJ_SE_EEvSA_SG_RKT3_T4_EUlifE0_EEvlNS_15PhiloxCudaStateESF_SG_,@function
_ZN2at6native12_GLOBAL__N_143distribution_elementwise_grid_stride_kernelIfLi4EZNS0_9templates4cuda20normal_and_transformIffPNS_17CUDAGeneratorImplEZZZNS4_17log_normal_kernelIS7_EEvRNS_18TensorIteratorBaseEddT_ENKUlvE_clEvENKUlvE0_clEvEUlfE_EEvSA_T1_T2_EUlP25hiprandStatePhilox4_32_10E0_ZNS1_27distribution_nullary_kernelIff15HIP_vector_typeIfLj4EES7_SJ_SE_EEvSA_SG_RKT3_T4_EUlifE0_EEvlNS_15PhiloxCudaStateESF_SG_: ; @_ZN2at6native12_GLOBAL__N_143distribution_elementwise_grid_stride_kernelIfLi4EZNS0_9templates4cuda20normal_and_transformIffPNS_17CUDAGeneratorImplEZZZNS4_17log_normal_kernelIS7_EEvRNS_18TensorIteratorBaseEddT_ENKUlvE_clEvENKUlvE0_clEvEUlfE_EEvSA_T1_T2_EUlP25hiprandStatePhilox4_32_10E0_ZNS1_27distribution_nullary_kernelIff15HIP_vector_typeIfLj4EES7_SJ_SE_EEvSA_SG_RKT3_T4_EUlifE0_EEvlNS_15PhiloxCudaStateESF_SG_
; %bb.0:
	s_clause 0x2
	s_load_b64 s[4:5], s[0:1], 0x10
	s_load_b128 s[16:19], s[0:1], 0x0
	s_load_b32 s2, s[0:1], 0x20
	s_waitcnt lgkmcnt(0)
	v_dual_mov_b32 v2, s4 :: v_dual_mov_b32 v3, s5
	v_dual_mov_b32 v8, s18 :: v_dual_mov_b32 v9, s19
	s_bitcmp0_b32 s2, 0
	s_mov_b32 s2, 0
	s_cbranch_scc1 .LBB7_2
; %bb.1:
	v_dual_mov_b32 v1, s4 :: v_dual_mov_b32 v2, s5
	v_dual_mov_b32 v4, s18 :: v_dual_mov_b32 v5, s19
	s_load_b64 s[4:5], s[0:1], 0x18
	flat_load_b64 v[2:3], v[1:2]
	flat_load_b64 v[8:9], v[4:5]
	s_waitcnt vmcnt(1) lgkmcnt(0)
	v_add_co_u32 v2, vcc_lo, v2, s4
	v_add_co_ci_u32_e32 v3, vcc_lo, s5, v3, vcc_lo
.LBB7_2:
	s_clause 0x1
	s_load_b32 s3, s[0:1], 0x154
	s_load_b32 s4, s[0:1], 0x148
	s_waitcnt lgkmcnt(0)
	s_and_b32 s5, s3, 0xffff
	s_add_u32 s6, s16, -1
	s_mul_i32 s26, s4, s5
	s_addc_u32 s3, s17, -1
	s_lshl_b32 s27, s26, 2
	s_cmp_lg_u64 s[2:3], 0
	s_cbranch_scc0 .LBB7_79
; %bb.3:
	v_cvt_f32_ubyte0_e32 v1, 0
	v_cvt_f32_u32_e32 v4, s27
	s_sub_u32 s8, 0, s27
	s_subb_u32 s9, 0, 0
	s_delay_alu instid0(VALU_DEP_1) | instskip(NEXT) | instid1(VALU_DEP_1)
	v_fmamk_f32 v1, v1, 0x4f800000, v4
	v_rcp_f32_e32 v1, v1
	s_waitcnt_depctr 0xfff
	v_mul_f32_e32 v1, 0x5f7ffffc, v1
	s_delay_alu instid0(VALU_DEP_1) | instskip(NEXT) | instid1(VALU_DEP_1)
	v_mul_f32_e32 v4, 0x2f800000, v1
	v_trunc_f32_e32 v4, v4
	s_delay_alu instid0(VALU_DEP_1) | instskip(SKIP_1) | instid1(VALU_DEP_2)
	v_fmamk_f32 v1, v4, 0xcf800000, v1
	v_cvt_u32_f32_e32 v4, v4
	v_cvt_u32_f32_e32 v1, v1
	s_delay_alu instid0(VALU_DEP_2) | instskip(NEXT) | instid1(VALU_DEP_2)
	v_readfirstlane_b32 s2, v4
	v_readfirstlane_b32 s7, v1
	s_delay_alu instid0(VALU_DEP_2) | instskip(NEXT) | instid1(VALU_DEP_1)
	s_mul_i32 s10, s8, s2
	s_mul_hi_u32 s12, s8, s7
	s_mul_i32 s11, s9, s7
	s_add_i32 s10, s12, s10
	s_mul_i32 s13, s8, s7
	s_add_i32 s10, s10, s11
	s_mul_hi_u32 s12, s7, s13
	s_mul_hi_u32 s14, s2, s13
	s_mul_i32 s11, s2, s13
	s_mul_hi_u32 s13, s7, s10
	s_mul_i32 s7, s7, s10
	s_mul_hi_u32 s18, s2, s10
	s_add_u32 s7, s12, s7
	s_addc_u32 s12, 0, s13
	s_add_u32 s7, s7, s11
	s_mul_i32 s10, s2, s10
	s_addc_u32 s7, s12, s14
	s_addc_u32 s11, s18, 0
	s_add_u32 s7, s7, s10
	s_addc_u32 s10, 0, s11
	v_add_co_u32 v1, s7, v1, s7
	s_delay_alu instid0(VALU_DEP_1) | instskip(SKIP_1) | instid1(VALU_DEP_1)
	s_cmp_lg_u32 s7, 0
	s_addc_u32 s2, s2, s10
	v_readfirstlane_b32 s7, v1
	s_mul_i32 s10, s8, s2
	s_delay_alu instid0(VALU_DEP_1)
	s_mul_hi_u32 s11, s8, s7
	s_mul_i32 s9, s9, s7
	s_add_i32 s10, s11, s10
	s_mul_i32 s8, s8, s7
	s_add_i32 s10, s10, s9
	s_mul_hi_u32 s11, s2, s8
	s_mul_i32 s12, s2, s8
	s_mul_hi_u32 s8, s7, s8
	s_mul_hi_u32 s13, s7, s10
	s_mul_i32 s7, s7, s10
	s_mul_hi_u32 s9, s2, s10
	s_add_u32 s7, s8, s7
	s_addc_u32 s8, 0, s13
	s_add_u32 s7, s7, s12
	s_mul_i32 s10, s2, s10
	s_addc_u32 s7, s8, s11
	s_addc_u32 s8, s9, 0
	s_add_u32 s7, s7, s10
	s_addc_u32 s8, 0, s8
	v_add_co_u32 v1, s7, v1, s7
	s_delay_alu instid0(VALU_DEP_1) | instskip(SKIP_2) | instid1(VALU_DEP_1)
	s_cmp_lg_u32 s7, 0
	s_addc_u32 s7, s2, s8
	s_ashr_i32 s8, s3, 31
	v_readfirstlane_b32 s10, v1
	s_add_u32 s2, s6, s8
	s_mov_b32 s9, s8
	s_addc_u32 s3, s3, s8
	s_delay_alu instid0(SALU_CYCLE_1) | instskip(NEXT) | instid1(SALU_CYCLE_1)
	s_xor_b64 s[2:3], s[2:3], s[8:9]
	s_mul_i32 s12, s2, s7
	s_mul_hi_u32 s13, s2, s10
	s_mul_hi_u32 s11, s2, s7
	;; [unrolled: 1-line block ×3, first 2 shown]
	s_mul_i32 s10, s3, s10
	s_add_u32 s12, s13, s12
	s_addc_u32 s11, 0, s11
	s_mul_hi_u32 s14, s3, s7
	s_add_u32 s10, s12, s10
	s_mul_i32 s7, s3, s7
	s_addc_u32 s10, s11, s18
	s_addc_u32 s11, s14, 0
	s_add_u32 s7, s10, s7
	s_addc_u32 s10, 0, s11
	s_mul_i32 s12, s27, s7
	s_add_u32 s11, s7, 1
	v_sub_co_u32 v1, s2, s2, s12
	s_mul_hi_u32 s12, s27, s7
	s_addc_u32 s13, s10, 0
	s_mul_i32 s14, s27, s10
	s_delay_alu instid0(VALU_DEP_1)
	v_sub_co_u32 v4, s18, v1, s27
	s_add_u32 s19, s7, 2
	s_addc_u32 s20, s10, 0
	s_add_i32 s12, s12, s14
	s_cmp_lg_u32 s2, 0
	v_readfirstlane_b32 s2, v4
	s_subb_u32 s3, s3, s12
	s_cmp_lg_u32 s18, 0
	s_subb_u32 s12, s3, 0
	s_delay_alu instid0(VALU_DEP_1) | instskip(SKIP_4) | instid1(SALU_CYCLE_1)
	s_cmp_ge_u32 s2, s27
	s_cselect_b32 s2, -1, 0
	s_cmp_eq_u32 s12, 0
	v_readfirstlane_b32 s12, v1
	s_cselect_b32 s2, s2, -1
	s_cmp_lg_u32 s2, 0
	s_cselect_b32 s2, s19, s11
	s_cselect_b32 s11, s20, s13
	s_cmp_ge_u32 s12, s27
	s_cselect_b32 s12, -1, 0
	s_cmp_eq_u32 s3, 0
	s_cselect_b32 s3, s12, -1
	s_delay_alu instid0(SALU_CYCLE_1) | instskip(SKIP_2) | instid1(SALU_CYCLE_1)
	s_cmp_lg_u32 s3, 0
	s_cselect_b32 s3, s11, s10
	s_cselect_b32 s2, s2, s7
	s_xor_b64 s[2:3], s[2:3], s[8:9]
	s_delay_alu instid0(SALU_CYCLE_1)
	s_sub_u32 s2, s2, s8
	s_subb_u32 s3, s3, s8
	s_cbranch_execnz .LBB7_5
.LBB7_4:
	v_cvt_f32_u32_e32 v1, s27
	s_sub_i32 s3, 0, s27
	s_delay_alu instid0(VALU_DEP_1) | instskip(SKIP_2) | instid1(VALU_DEP_1)
	v_rcp_iflag_f32_e32 v1, v1
	s_waitcnt_depctr 0xfff
	v_mul_f32_e32 v1, 0x4f7ffffe, v1
	v_cvt_u32_f32_e32 v1, v1
	s_delay_alu instid0(VALU_DEP_1) | instskip(NEXT) | instid1(VALU_DEP_1)
	v_readfirstlane_b32 s2, v1
	s_mul_i32 s3, s3, s2
	s_delay_alu instid0(SALU_CYCLE_1) | instskip(NEXT) | instid1(SALU_CYCLE_1)
	s_mul_hi_u32 s3, s2, s3
	s_add_i32 s2, s2, s3
	s_delay_alu instid0(SALU_CYCLE_1) | instskip(NEXT) | instid1(SALU_CYCLE_1)
	s_mul_hi_u32 s2, s6, s2
	s_mul_i32 s3, s2, s27
	s_delay_alu instid0(SALU_CYCLE_1)
	s_sub_i32 s3, s6, s3
	s_add_i32 s6, s2, 1
	s_sub_i32 s7, s3, s27
	s_cmp_ge_u32 s3, s27
	s_cselect_b32 s2, s6, s2
	s_cselect_b32 s3, s7, s3
	s_add_i32 s6, s2, 1
	s_cmp_ge_u32 s3, s27
	s_mov_b32 s3, 0
	s_cselect_b32 s2, s6, s2
.LBB7_5:
	v_mov_b32_e32 v1, 0
	s_add_u32 s2, s2, 1
	s_addc_u32 s3, s3, 0
	s_mul_hi_u32 s6, s26, s2
	s_mul_i32 s3, s26, s3
	v_mad_u64_u32 v[10:11], null, s5, s15, v[0:1]
	s_mul_hi_u32 s4, s4, s5
	s_add_i32 s3, s6, s3
	s_mul_i32 s4, s4, s2
	s_mul_i32 s2, s26, s2
	s_add_i32 s3, s3, s4
	s_mov_b32 s4, exec_lo
	s_lshl_b64 s[2:3], s[2:3], 2
	s_delay_alu instid0(SALU_CYCLE_1)
	v_cmpx_gt_i64_e64 s[2:3], v[10:11]
	s_cbranch_execz .LBB7_78
; %bb.6:
	v_alignbit_b32 v14, v3, v2, 2
	v_mad_u64_u32 v[4:5], null, 0xcd9e8d57, v10, 0
	v_lshrrev_b32_e32 v15, 2, v3
	s_waitcnt vmcnt(0)
	v_dual_mov_b32 v35, v9 :: v_dual_add_nc_u32 v26, 0x96a522ad, v9
	v_mad_u64_u32 v[0:1], null, 0xd2511f53, v14, 0
	v_add_co_u32 v17, null, 0x9e3779b9, v8
	v_xor3_b32 v3, v8, v5, v15
	s_delay_alu instid0(VALU_DEP_4) | instskip(SKIP_2) | instid1(VALU_DEP_4)
	v_add_co_u32 v16, null, 0xbb67ae85, v35
	v_add_co_u32 v18, null, 0x3c6ef372, v8
	v_xor_b32_e32 v1, v1, v9
	v_mad_u64_u32 v[5:6], null, 0xd2511f53, v3, 0
	v_add_co_u32 v19, null, 0x76cf5d0a, v35
	s_delay_alu instid0(VALU_DEP_3) | instskip(SKIP_2) | instid1(VALU_DEP_3)
	v_xor_b32_e32 v1, v1, v11
	v_add_co_u32 v20, null, 0x32370b8f, v35
	v_add_co_u32 v21, null, 0xdaa66d2b, v8
	v_mad_u64_u32 v[12:13], null, 0xcd9e8d57, v1, 0
	v_xor3_b32 v3, v16, v6, v0
	v_add_co_u32 v22, null, 0x78dde6e4, v8
	v_add_co_u32 v24, null, 0xed9eba14, v35
	s_delay_alu instid0(VALU_DEP_3) | instskip(SKIP_4) | instid1(VALU_DEP_4)
	v_mad_u64_u32 v[0:1], null, 0xcd9e8d57, v3, 0
	v_xor3_b32 v6, v17, v13, v4
	v_and_b32_e32 v23, 3, v2
	v_add_co_u32 v27, null, 0xa9066899, v35
	v_add_co_u32 v28, null, 0x1715609d, v8
	v_mad_u64_u32 v[3:4], null, 0xd2511f53, v6, 0
	v_xor3_b32 v1, v18, v1, v12
	v_add_co_u32 v30, null, 0xb54cda56, v8
	v_add_co_u32 v32, null, 0x646e171e, v35
	s_load_b256 s[4:11], s[0:1], 0x30
	s_delay_alu instid0(VALU_DEP_4) | instskip(SKIP_2) | instid1(VALU_DEP_3)
	v_xor3_b32 v12, v19, v4, v5
	v_mad_u64_u32 v[4:5], null, 0xd2511f53, v1, 0
	v_add_co_u32 v29, null, 0x5384540f, v8
	v_mad_u64_u32 v[6:7], null, 0xcd9e8d57, v12, 0
	v_add_co_u32 v34, null, 0x1fd5c5a3, v35
	s_delay_alu instid0(VALU_DEP_4) | instskip(SKIP_3) | instid1(VALU_DEP_4)
	v_xor3_b32 v3, v20, v5, v3
	v_add_co_u32 v31, null, 0xf1bbcdc8, v8
	v_add_co_u32 v35, null, 0xdb3d7428, v35
	v_xor3_b32 v5, v21, v7, v0
	v_mad_u64_u32 v[0:1], null, 0xcd9e8d57, v3, 0
	s_add_u32 s18, s0, 48
	s_clause 0x1
	s_load_b64 s[20:21], s[0:1], 0xf4
	s_load_b128 s[12:15], s[0:1], 0x138
	v_mad_u64_u32 v[12:13], null, 0xd2511f53, v5, 0
	s_addc_u32 s19, s1, 0
	s_waitcnt lgkmcnt(0)
	s_add_i32 s24, s4, -1
	v_xor3_b32 v3, v22, v1, v6
	s_cmp_gt_u32 s24, 1
	v_dual_mov_b32 v36, v11 :: v_dual_add_nc_u32 v25, 0x8ff34781, v8
	s_delay_alu instid0(VALU_DEP_3) | instskip(NEXT) | instid1(VALU_DEP_3)
	v_xor3_b32 v5, v24, v13, v4
	v_mad_u64_u32 v[1:2], null, 0xd2511f53, v3, 0
	s_cselect_b32 s11, -1, 0
	s_cmp_lg_u32 s4, 0
	s_delay_alu instid0(VALU_DEP_2) | instskip(SKIP_2) | instid1(VALU_DEP_2)
	v_mad_u64_u32 v[3:4], null, 0xcd9e8d57, v5, 0
	s_cselect_b32 s29, -1, 0
	s_add_u32 s22, s0, 0xf4
	v_xor3_b32 v2, v27, v2, v12
	s_addc_u32 s23, s1, 0
	s_min_u32 s0, s24, 15
	s_cmp_gt_u32 s4, 1
	s_delay_alu instid0(VALU_DEP_2) | instskip(SKIP_3) | instid1(VALU_DEP_2)
	v_xor3_b32 v0, v28, v4, v0
	v_mad_u64_u32 v[4:5], null, 0xcd9e8d57, v2, 0
	s_cselect_b32 s4, -1, 0
	s_add_i32 s0, s0, 1
	v_mad_u64_u32 v[6:7], null, 0xd2511f53, v0, 0
	s_lshl_b32 s30, s26, 1
	s_and_b32 s31, s0, 3
	s_delay_alu instid0(VALU_DEP_2) | instskip(SKIP_3) | instid1(VALU_DEP_3)
	v_xor3_b32 v2, v30, v5, v3
	s_cmp_lg_u32 s24, 2
	v_mov_b32_e32 v33, v10
	s_cselect_b32 s33, -1, 0
	v_xor3_b32 v5, v32, v7, v1
	v_mad_u64_u32 v[0:1], null, 0xd2511f53, v2, 0
	s_and_b32 s34, s0, 28
	s_cmp_lg_u32 s31, 0
	s_delay_alu instid0(VALU_DEP_2) | instskip(SKIP_2) | instid1(VALU_DEP_2)
	v_mad_u64_u32 v[2:3], null, 0xcd9e8d57, v5, 0
	s_mov_b32 s28, 0
	s_mul_i32 s35, s26, 3
	v_xor3_b32 v1, v34, v1, v6
	s_cselect_b32 s36, -1, 0
	s_delay_alu instid0(VALU_DEP_2) | instskip(NEXT) | instid1(VALU_DEP_2)
	v_xor3_b32 v5, v29, v3, v4
	v_mad_u64_u32 v[3:4], null, 0xcd9e8d57, v1, 0
	s_delay_alu instid0(VALU_DEP_2) | instskip(NEXT) | instid1(VALU_DEP_2)
	v_mad_u64_u32 v[12:13], null, 0xd2511f53, v5, 0
	v_xor3_b32 v2, v31, v4, v2
	s_delay_alu instid0(VALU_DEP_2) | instskip(NEXT) | instid1(VALU_DEP_2)
	v_xor3_b32 v6, v35, v13, v0
	v_mad_u64_u32 v[0:1], null, 0xd2511f53, v2, 0
	s_delay_alu instid0(VALU_DEP_2) | instskip(NEXT) | instid1(VALU_DEP_2)
	v_mad_u64_u32 v[4:5], null, 0xcd9e8d57, v6, 0
	v_mov_b32_e32 v6, v0
	s_delay_alu instid0(VALU_DEP_2) | instskip(NEXT) | instid1(VALU_DEP_4)
	v_xor3_b32 v3, v5, v3, v25
	v_xor3_b32 v5, v1, v12, v26
	s_branch .LBB7_9
.LBB7_7:                                ;   in Loop: Header=BB7_9 Depth=1
	v_mul_f32_e32 v3, 0.15915494, v5
	s_delay_alu instid0(VALU_DEP_1) | instskip(SKIP_2) | instid1(VALU_DEP_1)
	v_cos_f32_e32 v3, v3
	s_waitcnt_depctr 0xfff
	v_mul_f32_e32 v3, v3, v6
	v_fma_f32 v3, v3, s15, s14
	s_delay_alu instid0(VALU_DEP_1) | instskip(SKIP_1) | instid1(VALU_DEP_2)
	v_mul_f32_e32 v5, 0x3fb8aa3b, v3
	v_cmp_ngt_f32_e32 vcc_lo, 0xc2ce8ed0, v3
	v_fma_f32 v6, 0x3fb8aa3b, v3, -v5
	v_rndne_f32_e32 v7, v5
	s_delay_alu instid0(VALU_DEP_2) | instskip(NEXT) | instid1(VALU_DEP_2)
	v_fmac_f32_e32 v6, 0x32a5705f, v3
	v_sub_f32_e32 v5, v5, v7
	s_delay_alu instid0(VALU_DEP_1) | instskip(SKIP_1) | instid1(VALU_DEP_2)
	v_add_f32_e32 v5, v5, v6
	v_cvt_i32_f32_e32 v6, v7
	v_exp_f32_e32 v5, v5
	s_waitcnt_depctr 0xfff
	v_ldexp_f32 v5, v5, v6
	s_delay_alu instid0(VALU_DEP_1) | instskip(SKIP_1) | instid1(VALU_DEP_2)
	v_cndmask_b32_e32 v5, 0, v5, vcc_lo
	v_cmp_nlt_f32_e32 vcc_lo, 0x42b17218, v3
	v_cndmask_b32_e32 v3, 0x7f800000, v5, vcc_lo
	global_store_b32 v4, v3, s[12:13]
.LBB7_8:                                ;   in Loop: Header=BB7_9 Depth=1
	s_or_b32 exec_lo, exec_lo, s37
	v_add_co_u32 v10, vcc_lo, v10, s27
	v_add_co_ci_u32_e32 v11, vcc_lo, 0, v11, vcc_lo
	v_mov_b32_e32 v3, v12
	s_waitcnt_vscnt null, 0x0
	s_barrier
	s_delay_alu instid0(VALU_DEP_2)
	v_cmp_le_i64_e32 vcc_lo, s[2:3], v[10:11]
	buffer_gl0_inv
	v_mov_b32_e32 v6, v3
	v_dual_mov_b32 v5, v2 :: v_dual_mov_b32 v4, v1
	v_mov_b32_e32 v3, v0
	s_or_b32 s28, vcc_lo, s28
	s_delay_alu instid0(SALU_CYCLE_1)
	s_and_not1_b32 exec_lo, exec_lo, s28
	s_cbranch_execz .LBB7_78
.LBB7_9:                                ; =>This Loop Header: Depth=1
                                        ;     Child Loop BB7_24 Depth 2
                                        ;     Child Loop BB7_29 Depth 2
	;; [unrolled: 1-line block ×8, first 2 shown]
	v_add_co_u32 v14, vcc_lo, v14, 1
	s_delay_alu instid0(VALU_DEP_1) | instskip(SKIP_2) | instid1(VALU_DEP_1)
	v_cndmask_b32_e64 v0, 0, 1, vcc_lo
	v_add_co_ci_u32_e32 v15, vcc_lo, 0, v15, vcc_lo
	s_mov_b32 s0, exec_lo
	v_cmp_eq_u32_e32 vcc_lo, 0, v15
	s_delay_alu instid0(VALU_DEP_3) | instskip(NEXT) | instid1(VALU_DEP_1)
	v_cndmask_b32_e32 v0, 0, v0, vcc_lo
	v_add_nc_u32_e32 v33, v0, v33
	s_delay_alu instid0(VALU_DEP_1) | instskip(SKIP_2) | instid1(VALU_DEP_2)
	v_cmp_eq_u32_e32 vcc_lo, 0, v33
	v_cndmask_b32_e32 v0, 0, v0, vcc_lo
	v_mad_u64_u32 v[12:13], null, 0xcd9e8d57, v33, 0
	v_add_nc_u32_e32 v36, v0, v36
	v_mad_u64_u32 v[0:1], null, 0xd2511f53, v14, 0
	s_delay_alu instid0(VALU_DEP_3) | instskip(NEXT) | instid1(VALU_DEP_2)
	v_xor3_b32 v7, v13, v8, v15
	v_xor_b32_e32 v1, v1, v9
	s_delay_alu instid0(VALU_DEP_1) | instskip(NEXT) | instid1(VALU_DEP_3)
	v_xor_b32_e32 v13, v36, v1
	v_mad_u64_u32 v[1:2], null, 0xd2511f53, v7, 0
	s_delay_alu instid0(VALU_DEP_2) | instskip(NEXT) | instid1(VALU_DEP_2)
	v_mad_u64_u32 v[37:38], null, 0xcd9e8d57, v13, 0
	v_xor3_b32 v0, v16, v2, v0
	s_delay_alu instid0(VALU_DEP_2) | instskip(NEXT) | instid1(VALU_DEP_2)
	v_xor3_b32 v2, v17, v38, v12
	v_mad_u64_u32 v[12:13], null, 0xcd9e8d57, v0, 0
	s_delay_alu instid0(VALU_DEP_2) | instskip(NEXT) | instid1(VALU_DEP_2)
	v_mad_u64_u32 v[38:39], null, 0xd2511f53, v2, 0
	v_xor3_b32 v2, v18, v13, v37
	s_delay_alu instid0(VALU_DEP_2) | instskip(NEXT) | instid1(VALU_DEP_2)
	v_xor3_b32 v7, v19, v39, v1
	v_mad_u64_u32 v[0:1], null, 0xd2511f53, v2, 0
	s_delay_alu instid0(VALU_DEP_2) | instskip(NEXT) | instid1(VALU_DEP_2)
	v_mad_u64_u32 v[39:40], null, 0xcd9e8d57, v7, 0
	v_xor3_b32 v7, v20, v1, v38
	s_delay_alu instid0(VALU_DEP_2) | instskip(NEXT) | instid1(VALU_DEP_2)
	v_xor3_b32 v37, v21, v40, v12
	v_mad_u64_u32 v[1:2], null, 0xcd9e8d57, v7, 0
	s_delay_alu instid0(VALU_DEP_2) | instskip(NEXT) | instid1(VALU_DEP_2)
	v_mad_u64_u32 v[12:13], null, 0xd2511f53, v37, 0
	v_xor3_b32 v2, v22, v2, v39
	s_delay_alu instid0(VALU_DEP_2) | instskip(NEXT) | instid1(VALU_DEP_2)
	v_xor3_b32 v0, v24, v13, v0
	v_mad_u64_u32 v[37:38], null, 0xd2511f53, v2, 0
	s_delay_alu instid0(VALU_DEP_2) | instskip(NEXT) | instid1(VALU_DEP_2)
	v_mad_u64_u32 v[39:40], null, 0xcd9e8d57, v0, 0
	v_xor3_b32 v2, v27, v38, v12
	s_delay_alu instid0(VALU_DEP_2) | instskip(NEXT) | instid1(VALU_DEP_2)
	v_xor3_b32 v7, v28, v40, v1
	v_mad_u64_u32 v[0:1], null, 0xcd9e8d57, v2, 0
	s_delay_alu instid0(VALU_DEP_2) | instskip(NEXT) | instid1(VALU_DEP_2)
	v_mad_u64_u32 v[12:13], null, 0xd2511f53, v7, 0
	v_xor3_b32 v7, v30, v1, v39
	s_delay_alu instid0(VALU_DEP_2) | instskip(NEXT) | instid1(VALU_DEP_2)
	v_xor3_b32 v13, v32, v13, v37
	v_mad_u64_u32 v[1:2], null, 0xd2511f53, v7, 0
	s_delay_alu instid0(VALU_DEP_2) | instskip(NEXT) | instid1(VALU_DEP_2)
	v_mad_u64_u32 v[37:38], null, 0xcd9e8d57, v13, 0
	v_xor3_b32 v2, v34, v2, v12
	s_delay_alu instid0(VALU_DEP_2) | instskip(NEXT) | instid1(VALU_DEP_2)
	v_xor3_b32 v0, v29, v38, v0
	v_mad_u64_u32 v[38:39], null, 0xcd9e8d57, v2, 0
	s_delay_alu instid0(VALU_DEP_2) | instskip(NEXT) | instid1(VALU_DEP_2)
	v_mad_u64_u32 v[40:41], null, 0xd2511f53, v0, 0
	v_xor3_b32 v0, v31, v39, v37
	s_delay_alu instid0(VALU_DEP_2) | instskip(NEXT) | instid1(VALU_DEP_2)
	v_xor3_b32 v7, v35, v41, v1
	v_mad_u64_u32 v[12:13], null, 0xd2511f53, v0, 0
	s_delay_alu instid0(VALU_DEP_2) | instskip(NEXT) | instid1(VALU_DEP_2)
	v_mad_u64_u32 v[1:2], null, 0xcd9e8d57, v7, 0
	v_xor3_b32 v7, v13, v40, v26
	s_delay_alu instid0(VALU_DEP_2) | instskip(NEXT) | instid1(VALU_DEP_2)
	v_xor3_b32 v0, v2, v38, v25
	v_mov_b32_e32 v2, v7
	v_cmpx_lt_i32_e32 1, v23
	s_xor_b32 s0, exec_lo, s0
	s_cbranch_execz .LBB7_15
; %bb.10:                               ;   in Loop: Header=BB7_9 Depth=1
	s_mov_b32 s1, exec_lo
	v_cmpx_lt_i32_e32 2, v23
	s_xor_b32 s1, exec_lo, s1
; %bb.11:                               ;   in Loop: Header=BB7_9 Depth=1
	v_dual_mov_b32 v4, v6 :: v_dual_mov_b32 v5, v0
	v_mov_b32_e32 v6, v1
	s_delay_alu instid0(VALU_DEP_2) | instskip(NEXT) | instid1(VALU_DEP_3)
	v_mov_b32_e32 v3, v4
	v_mov_b32_e32 v4, v5
	s_delay_alu instid0(VALU_DEP_3)
	v_mov_b32_e32 v5, v6
	v_mov_b32_e32 v6, v7
; %bb.12:                               ;   in Loop: Header=BB7_9 Depth=1
	s_and_not1_saveexec_b32 s1, s1
; %bb.13:                               ;   in Loop: Header=BB7_9 Depth=1
	s_delay_alu instid0(VALU_DEP_1)
	v_dual_mov_b32 v3, v5 :: v_dual_mov_b32 v4, v6
	v_dual_mov_b32 v5, v0 :: v_dual_mov_b32 v6, v1
; %bb.14:                               ;   in Loop: Header=BB7_9 Depth=1
	s_or_b32 exec_lo, exec_lo, s1
.LBB7_15:                               ;   in Loop: Header=BB7_9 Depth=1
	s_and_not1_saveexec_b32 s0, s0
	s_cbranch_execz .LBB7_19
; %bb.16:                               ;   in Loop: Header=BB7_9 Depth=1
	s_mov_b32 s1, exec_lo
	v_cmpx_eq_u32_e32 1, v23
; %bb.17:                               ;   in Loop: Header=BB7_9 Depth=1
	v_dual_mov_b32 v3, v4 :: v_dual_mov_b32 v4, v5
	v_dual_mov_b32 v5, v6 :: v_dual_mov_b32 v6, v0
; %bb.18:                               ;   in Loop: Header=BB7_9 Depth=1
	s_or_b32 exec_lo, exec_lo, s1
.LBB7_19:                               ;   in Loop: Header=BB7_9 Depth=1
	s_delay_alu instid0(SALU_CYCLE_1) | instskip(NEXT) | instid1(VALU_DEP_2)
	s_or_b32 exec_lo, exec_lo, s0
	v_cvt_f32_u32_e32 v3, v3
	v_cvt_f32_u32_e32 v4, v4
	s_mov_b32 s37, exec_lo
	s_delay_alu instid0(VALU_DEP_2) | instskip(NEXT) | instid1(VALU_DEP_1)
	v_fmaak_f32 v3, 0x2f800000, v3, 0x2f800000
	v_cmp_gt_f32_e32 vcc_lo, 0x800000, v3
	v_cndmask_b32_e64 v7, 1.0, 0x4f800000, vcc_lo
	s_delay_alu instid0(VALU_DEP_1) | instskip(NEXT) | instid1(VALU_DEP_1)
	v_mul_f32_e32 v3, v3, v7
	v_log_f32_e32 v3, v3
	s_waitcnt_depctr 0xfff
	v_mul_f32_e32 v7, 0x3f317217, v3
	s_delay_alu instid0(VALU_DEP_1) | instskip(NEXT) | instid1(VALU_DEP_1)
	v_fma_f32 v13, 0x3f317217, v3, -v7
	v_fmac_f32_e32 v13, 0x3377d1cf, v3
	s_delay_alu instid0(VALU_DEP_1) | instskip(SKIP_2) | instid1(VALU_DEP_3)
	v_add_f32_e32 v7, v7, v13
	v_cndmask_b32_e64 v13, 0, 0x41b17218, vcc_lo
	v_cmp_gt_f32_e64 vcc_lo, 0x7f800000, |v3|
	v_cndmask_b32_e32 v3, v3, v7, vcc_lo
	s_delay_alu instid0(VALU_DEP_1) | instskip(NEXT) | instid1(VALU_DEP_1)
	v_sub_f32_e32 v3, v3, v13
	v_mul_f32_e32 v3, -2.0, v3
	s_delay_alu instid0(VALU_DEP_1) | instskip(SKIP_1) | instid1(VALU_DEP_2)
	v_mul_f32_e32 v7, 0x4f800000, v3
	v_cmp_gt_f32_e32 vcc_lo, 0xf800000, v3
	v_cndmask_b32_e32 v3, v3, v7, vcc_lo
	s_delay_alu instid0(VALU_DEP_1) | instskip(SKIP_3) | instid1(VALU_DEP_2)
	v_sqrt_f32_e32 v7, v3
	s_waitcnt_depctr 0xfff
	v_add_nc_u32_e32 v13, -1, v7
	v_add_nc_u32_e32 v37, 1, v7
	v_fma_f32 v38, -v13, v7, v3
	s_delay_alu instid0(VALU_DEP_2) | instskip(NEXT) | instid1(VALU_DEP_2)
	v_fma_f32 v39, -v37, v7, v3
	v_cmp_ge_f32_e64 s0, 0, v38
	s_delay_alu instid0(VALU_DEP_1) | instskip(NEXT) | instid1(VALU_DEP_3)
	v_cndmask_b32_e64 v7, v7, v13, s0
	v_cmp_lt_f32_e64 s0, 0, v39
	s_delay_alu instid0(VALU_DEP_1) | instskip(SKIP_1) | instid1(VALU_DEP_2)
	v_cndmask_b32_e64 v7, v7, v37, s0
	v_cmp_class_f32_e64 s0, v3, 0x260
	v_mul_f32_e32 v13, 0x37800000, v7
	s_delay_alu instid0(VALU_DEP_1) | instskip(SKIP_1) | instid1(VALU_DEP_2)
	v_cndmask_b32_e32 v13, v7, v13, vcc_lo
	v_fmaak_f32 v7, 0x30c90fdb, v4, 0x30c90fdb
	v_cndmask_b32_e64 v13, v13, v3, s0
	v_cmpx_gt_i64_e64 s[16:17], v[10:11]
	s_cbranch_execz .LBB7_34
; %bb.20:                               ;   in Loop: Header=BB7_9 Depth=1
	s_and_not1_b32 vcc_lo, exec_lo, s11
	s_cbranch_vccnz .LBB7_26
; %bb.21:                               ;   in Loop: Header=BB7_9 Depth=1
	v_mov_b32_e32 v3, 0
	s_and_not1_b32 vcc_lo, exec_lo, s29
	s_cbranch_vccnz .LBB7_30
; %bb.22:                               ;   in Loop: Header=BB7_9 Depth=1
	s_and_not1_b32 vcc_lo, exec_lo, s33
	s_mov_b32 s0, 0
	s_cbranch_vccnz .LBB7_27
; %bb.23:                               ;   in Loop: Header=BB7_9 Depth=1
	v_dual_mov_b32 v3, 0 :: v_dual_mov_b32 v4, v10
	s_mov_b32 s38, 0
	s_mov_b64 s[0:1], s[18:19]
	s_mov_b64 s[24:25], s[22:23]
.LBB7_24:                               ;   Parent Loop BB7_9 Depth=1
                                        ; =>  This Inner Loop Header: Depth=2
	s_clause 0x1
	s_load_b256 s[40:47], s[0:1], 0x4
	s_load_b128 s[48:51], s[0:1], 0x24
	s_load_b128 s[52:55], s[24:25], 0x0
	s_add_u32 s0, s0, 48
	s_addc_u32 s1, s1, 0
	s_add_i32 s38, s38, 4
	s_add_u32 s24, s24, 16
	s_addc_u32 s25, s25, 0
	s_cmp_lg_u32 s34, s38
	s_waitcnt lgkmcnt(0)
	v_mul_hi_u32 v37, s41, v4
	s_delay_alu instid0(VALU_DEP_1) | instskip(NEXT) | instid1(VALU_DEP_1)
	v_add_nc_u32_e32 v37, v4, v37
	v_lshrrev_b32_e32 v37, s42, v37
	s_delay_alu instid0(VALU_DEP_1) | instskip(SKIP_1) | instid1(VALU_DEP_2)
	v_mul_hi_u32 v38, s44, v37
	v_mul_lo_u32 v41, v37, s40
	v_add_nc_u32_e32 v38, v37, v38
	s_delay_alu instid0(VALU_DEP_2) | instskip(NEXT) | instid1(VALU_DEP_2)
	v_sub_nc_u32_e32 v41, v4, v41
	v_lshrrev_b32_e32 v38, s45, v38
	s_delay_alu instid0(VALU_DEP_2) | instskip(NEXT) | instid1(VALU_DEP_2)
	v_mul_lo_u32 v41, v41, s52
	v_mul_hi_u32 v39, s47, v38
	v_mul_lo_u32 v42, v38, s43
	s_delay_alu instid0(VALU_DEP_2) | instskip(NEXT) | instid1(VALU_DEP_2)
	v_add_nc_u32_e32 v39, v38, v39
	v_sub_nc_u32_e32 v37, v37, v42
	s_delay_alu instid0(VALU_DEP_2) | instskip(NEXT) | instid1(VALU_DEP_2)
	v_lshrrev_b32_e32 v39, s48, v39
	v_mul_lo_u32 v37, v37, s53
	s_delay_alu instid0(VALU_DEP_2) | instskip(NEXT) | instid1(VALU_DEP_2)
	v_mul_hi_u32 v40, s50, v39
	v_add3_u32 v3, v41, v3, v37
	s_delay_alu instid0(VALU_DEP_2) | instskip(NEXT) | instid1(VALU_DEP_1)
	v_add_nc_u32_e32 v40, v39, v40
	v_lshrrev_b32_e32 v4, s51, v40
	v_mul_lo_u32 v40, v39, s46
	s_delay_alu instid0(VALU_DEP_2) | instskip(NEXT) | instid1(VALU_DEP_2)
	v_mul_lo_u32 v43, v4, s49
	v_sub_nc_u32_e32 v38, v38, v40
	s_delay_alu instid0(VALU_DEP_2) | instskip(NEXT) | instid1(VALU_DEP_2)
	v_sub_nc_u32_e32 v39, v39, v43
	v_mul_lo_u32 v38, v38, s54
	s_delay_alu instid0(VALU_DEP_2) | instskip(NEXT) | instid1(VALU_DEP_1)
	v_mul_lo_u32 v39, v39, s55
	v_add3_u32 v3, v38, v3, v39
	s_cbranch_scc1 .LBB7_24
; %bb.25:                               ;   in Loop: Header=BB7_9 Depth=1
	s_mov_b32 s0, s34
	s_and_not1_b32 vcc_lo, exec_lo, s36
	s_cbranch_vccz .LBB7_28
	s_branch .LBB7_30
.LBB7_26:                               ;   in Loop: Header=BB7_9 Depth=1
                                        ; implicit-def: $vgpr3
	s_branch .LBB7_31
.LBB7_27:                               ;   in Loop: Header=BB7_9 Depth=1
	v_mov_b32_e32 v4, v10
	s_and_not1_b32 vcc_lo, exec_lo, s36
	s_cbranch_vccnz .LBB7_30
.LBB7_28:                               ;   in Loop: Header=BB7_9 Depth=1
	s_lshl_b32 s1, s0, 2
	s_mul_i32 s24, s0, 12
	s_add_u32 s0, s22, s1
	s_addc_u32 s1, s23, 0
	s_add_u32 s24, s18, s24
	s_addc_u32 s25, s19, 0
	s_mov_b32 s38, s31
	.p2align	6
.LBB7_29:                               ;   Parent Loop BB7_9 Depth=1
                                        ; =>  This Inner Loop Header: Depth=2
	s_clause 0x1
	s_load_b64 s[40:41], s[24:25], 0x4
	s_load_b32 s39, s[24:25], 0xc
	s_add_u32 s24, s24, 12
	s_addc_u32 s25, s25, 0
	s_waitcnt lgkmcnt(0)
	v_mul_hi_u32 v37, s41, v4
	s_load_b32 s41, s[0:1], 0x0
	s_add_u32 s0, s0, 4
	s_addc_u32 s1, s1, 0
	s_add_i32 s38, s38, -1
	s_delay_alu instid0(SALU_CYCLE_1) | instskip(NEXT) | instid1(VALU_DEP_1)
	s_cmp_lg_u32 s38, 0
	v_add_nc_u32_e32 v37, v4, v37
	s_delay_alu instid0(VALU_DEP_1) | instskip(NEXT) | instid1(VALU_DEP_1)
	v_lshrrev_b32_e32 v39, s39, v37
	v_mul_lo_u32 v37, v39, s40
	s_delay_alu instid0(VALU_DEP_1) | instskip(SKIP_1) | instid1(VALU_DEP_1)
	v_sub_nc_u32_e32 v4, v4, v37
	s_waitcnt lgkmcnt(0)
	v_mad_u64_u32 v[37:38], null, v4, s41, v[3:4]
	s_delay_alu instid0(VALU_DEP_1)
	v_dual_mov_b32 v4, v39 :: v_dual_mov_b32 v3, v37
	s_cbranch_scc1 .LBB7_29
.LBB7_30:                               ;   in Loop: Header=BB7_9 Depth=1
	s_cbranch_execnz .LBB7_33
.LBB7_31:                               ;   in Loop: Header=BB7_9 Depth=1
	v_mul_hi_u32 v3, v10, s6
	s_and_not1_b32 vcc_lo, exec_lo, s4
	s_delay_alu instid0(VALU_DEP_1) | instskip(NEXT) | instid1(VALU_DEP_1)
	v_add_nc_u32_e32 v3, v3, v10
	v_lshrrev_b32_e32 v4, s7, v3
	s_delay_alu instid0(VALU_DEP_1) | instskip(NEXT) | instid1(VALU_DEP_1)
	v_mul_lo_u32 v3, v4, s5
	v_sub_nc_u32_e32 v3, v10, v3
	s_delay_alu instid0(VALU_DEP_1)
	v_mul_lo_u32 v3, v3, s20
	s_cbranch_vccnz .LBB7_33
; %bb.32:                               ;   in Loop: Header=BB7_9 Depth=1
	v_mul_hi_u32 v37, s9, v4
	s_delay_alu instid0(VALU_DEP_1) | instskip(NEXT) | instid1(VALU_DEP_1)
	v_add_nc_u32_e32 v37, v4, v37
	v_lshrrev_b32_e32 v37, s10, v37
	s_delay_alu instid0(VALU_DEP_1) | instskip(NEXT) | instid1(VALU_DEP_1)
	v_mul_lo_u32 v37, v37, s8
	v_sub_nc_u32_e32 v4, v4, v37
	s_delay_alu instid0(VALU_DEP_1) | instskip(NEXT) | instid1(VALU_DEP_1)
	v_mad_u64_u32 v[37:38], null, v4, s21, v[3:4]
	v_mov_b32_e32 v3, v37
.LBB7_33:                               ;   in Loop: Header=BB7_9 Depth=1
	v_mul_f32_e32 v4, 0.15915494, v7
	s_delay_alu instid0(VALU_DEP_1) | instskip(SKIP_2) | instid1(VALU_DEP_1)
	v_sin_f32_e32 v4, v4
	s_waitcnt_depctr 0xfff
	v_mul_f32_e32 v4, v4, v13
	v_fma_f32 v4, v4, s15, s14
	s_delay_alu instid0(VALU_DEP_1) | instskip(SKIP_1) | instid1(VALU_DEP_2)
	v_mul_f32_e32 v37, 0x3fb8aa3b, v4
	v_cmp_ngt_f32_e32 vcc_lo, 0xc2ce8ed0, v4
	v_fma_f32 v38, 0x3fb8aa3b, v4, -v37
	v_rndne_f32_e32 v39, v37
	s_delay_alu instid0(VALU_DEP_1) | instskip(NEXT) | instid1(VALU_DEP_1)
	v_dual_fmac_f32 v38, 0x32a5705f, v4 :: v_dual_sub_f32 v37, v37, v39
	v_add_f32_e32 v37, v37, v38
	v_cvt_i32_f32_e32 v38, v39
	s_delay_alu instid0(VALU_DEP_2) | instskip(SKIP_2) | instid1(VALU_DEP_1)
	v_exp_f32_e32 v37, v37
	s_waitcnt_depctr 0xfff
	v_ldexp_f32 v37, v37, v38
	v_cndmask_b32_e32 v37, 0, v37, vcc_lo
	v_cmp_nlt_f32_e32 vcc_lo, 0x42b17218, v4
	s_delay_alu instid0(VALU_DEP_2)
	v_cndmask_b32_e32 v4, 0x7f800000, v37, vcc_lo
	global_store_b32 v3, v4, s[12:13]
.LBB7_34:                               ;   in Loop: Header=BB7_9 Depth=1
	s_or_b32 exec_lo, exec_lo, s37
	v_add_co_u32 v3, vcc_lo, v10, s26
	v_add_co_ci_u32_e32 v4, vcc_lo, 0, v11, vcc_lo
	s_mov_b32 s37, exec_lo
	s_delay_alu instid0(VALU_DEP_1)
	v_cmpx_gt_i64_e64 s[16:17], v[3:4]
	s_cbranch_execz .LBB7_49
; %bb.35:                               ;   in Loop: Header=BB7_9 Depth=1
	s_and_not1_b32 vcc_lo, exec_lo, s11
	s_cbranch_vccnz .LBB7_41
; %bb.36:                               ;   in Loop: Header=BB7_9 Depth=1
	v_mov_b32_e32 v4, 0
	s_and_not1_b32 vcc_lo, exec_lo, s29
	s_cbranch_vccnz .LBB7_45
; %bb.37:                               ;   in Loop: Header=BB7_9 Depth=1
	s_and_not1_b32 vcc_lo, exec_lo, s33
	s_mov_b32 s0, 0
	s_cbranch_vccnz .LBB7_42
; %bb.38:                               ;   in Loop: Header=BB7_9 Depth=1
	v_dual_mov_b32 v4, 0 :: v_dual_mov_b32 v37, v3
	s_mov_b32 s38, 0
	s_mov_b64 s[0:1], s[18:19]
	s_mov_b64 s[24:25], s[22:23]
.LBB7_39:                               ;   Parent Loop BB7_9 Depth=1
                                        ; =>  This Inner Loop Header: Depth=2
	s_clause 0x1
	s_load_b256 s[40:47], s[0:1], 0x4
	s_load_b128 s[48:51], s[0:1], 0x24
	s_load_b128 s[52:55], s[24:25], 0x0
	s_add_u32 s0, s0, 48
	s_addc_u32 s1, s1, 0
	s_add_i32 s38, s38, 4
	s_add_u32 s24, s24, 16
	s_addc_u32 s25, s25, 0
	s_cmp_eq_u32 s34, s38
	s_waitcnt lgkmcnt(0)
	v_mul_hi_u32 v38, s41, v37
	s_delay_alu instid0(VALU_DEP_1) | instskip(NEXT) | instid1(VALU_DEP_1)
	v_add_nc_u32_e32 v38, v37, v38
	v_lshrrev_b32_e32 v38, s42, v38
	s_delay_alu instid0(VALU_DEP_1) | instskip(SKIP_1) | instid1(VALU_DEP_2)
	v_mul_hi_u32 v39, s44, v38
	v_mul_lo_u32 v42, v38, s40
	v_add_nc_u32_e32 v39, v38, v39
	s_delay_alu instid0(VALU_DEP_2) | instskip(NEXT) | instid1(VALU_DEP_2)
	v_sub_nc_u32_e32 v42, v37, v42
	v_lshrrev_b32_e32 v39, s45, v39
	s_delay_alu instid0(VALU_DEP_2) | instskip(NEXT) | instid1(VALU_DEP_2)
	v_mul_lo_u32 v42, v42, s52
	v_mul_hi_u32 v40, s47, v39
	v_mul_lo_u32 v43, v39, s43
	s_delay_alu instid0(VALU_DEP_2) | instskip(NEXT) | instid1(VALU_DEP_2)
	v_add_nc_u32_e32 v40, v39, v40
	v_sub_nc_u32_e32 v38, v38, v43
	s_delay_alu instid0(VALU_DEP_2) | instskip(NEXT) | instid1(VALU_DEP_2)
	v_lshrrev_b32_e32 v40, s48, v40
	v_mul_lo_u32 v38, v38, s53
	s_delay_alu instid0(VALU_DEP_2) | instskip(NEXT) | instid1(VALU_DEP_2)
	v_mul_hi_u32 v41, s50, v40
	v_add3_u32 v4, v42, v4, v38
	s_delay_alu instid0(VALU_DEP_2) | instskip(NEXT) | instid1(VALU_DEP_1)
	v_add_nc_u32_e32 v41, v40, v41
	v_lshrrev_b32_e32 v37, s51, v41
	v_mul_lo_u32 v41, v40, s46
	s_delay_alu instid0(VALU_DEP_2) | instskip(NEXT) | instid1(VALU_DEP_2)
	v_mul_lo_u32 v44, v37, s49
	v_sub_nc_u32_e32 v39, v39, v41
	s_delay_alu instid0(VALU_DEP_2) | instskip(NEXT) | instid1(VALU_DEP_2)
	v_sub_nc_u32_e32 v40, v40, v44
	v_mul_lo_u32 v39, v39, s54
	s_delay_alu instid0(VALU_DEP_2) | instskip(NEXT) | instid1(VALU_DEP_1)
	v_mul_lo_u32 v40, v40, s55
	v_add3_u32 v4, v39, v4, v40
	s_cbranch_scc0 .LBB7_39
; %bb.40:                               ;   in Loop: Header=BB7_9 Depth=1
	s_mov_b32 s0, s34
	s_and_not1_b32 vcc_lo, exec_lo, s36
	s_cbranch_vccz .LBB7_43
	s_branch .LBB7_45
.LBB7_41:                               ;   in Loop: Header=BB7_9 Depth=1
                                        ; implicit-def: $vgpr4
	s_branch .LBB7_46
.LBB7_42:                               ;   in Loop: Header=BB7_9 Depth=1
	v_mov_b32_e32 v37, v3
	s_and_not1_b32 vcc_lo, exec_lo, s36
	s_cbranch_vccnz .LBB7_45
.LBB7_43:                               ;   in Loop: Header=BB7_9 Depth=1
	s_lshl_b32 s1, s0, 2
	s_mul_i32 s24, s0, 12
	s_add_u32 s0, s22, s1
	s_addc_u32 s1, s23, 0
	s_add_u32 s24, s18, s24
	s_addc_u32 s25, s19, 0
	s_mov_b32 s38, s31
	.p2align	6
.LBB7_44:                               ;   Parent Loop BB7_9 Depth=1
                                        ; =>  This Inner Loop Header: Depth=2
	s_clause 0x1
	s_load_b64 s[40:41], s[24:25], 0x4
	s_load_b32 s39, s[24:25], 0xc
	s_add_u32 s24, s24, 12
	s_addc_u32 s25, s25, 0
	s_waitcnt lgkmcnt(0)
	v_mul_hi_u32 v38, s41, v37
	s_load_b32 s41, s[0:1], 0x0
	s_add_u32 s0, s0, 4
	s_addc_u32 s1, s1, 0
	s_add_i32 s38, s38, -1
	s_delay_alu instid0(SALU_CYCLE_1) | instskip(NEXT) | instid1(VALU_DEP_1)
	s_cmp_lg_u32 s38, 0
	v_add_nc_u32_e32 v38, v37, v38
	s_delay_alu instid0(VALU_DEP_1) | instskip(NEXT) | instid1(VALU_DEP_1)
	v_lshrrev_b32_e32 v40, s39, v38
	v_mul_lo_u32 v38, v40, s40
	s_delay_alu instid0(VALU_DEP_1) | instskip(SKIP_1) | instid1(VALU_DEP_1)
	v_sub_nc_u32_e32 v37, v37, v38
	s_waitcnt lgkmcnt(0)
	v_mad_u64_u32 v[38:39], null, v37, s41, v[4:5]
	s_delay_alu instid0(VALU_DEP_1)
	v_dual_mov_b32 v37, v40 :: v_dual_mov_b32 v4, v38
	s_cbranch_scc1 .LBB7_44
.LBB7_45:                               ;   in Loop: Header=BB7_9 Depth=1
	s_cbranch_execnz .LBB7_48
.LBB7_46:                               ;   in Loop: Header=BB7_9 Depth=1
	v_mul_hi_u32 v4, v3, s6
	s_and_not1_b32 vcc_lo, exec_lo, s4
	s_delay_alu instid0(VALU_DEP_1) | instskip(NEXT) | instid1(VALU_DEP_1)
	v_add_nc_u32_e32 v4, v4, v3
	v_lshrrev_b32_e32 v37, s7, v4
	s_delay_alu instid0(VALU_DEP_1) | instskip(NEXT) | instid1(VALU_DEP_1)
	v_mul_lo_u32 v4, v37, s5
	v_sub_nc_u32_e32 v3, v3, v4
	s_delay_alu instid0(VALU_DEP_1)
	v_mul_lo_u32 v4, v3, s20
	s_cbranch_vccnz .LBB7_48
; %bb.47:                               ;   in Loop: Header=BB7_9 Depth=1
	v_mul_hi_u32 v3, s9, v37
	s_delay_alu instid0(VALU_DEP_1) | instskip(NEXT) | instid1(VALU_DEP_1)
	v_add_nc_u32_e32 v3, v37, v3
	v_lshrrev_b32_e32 v3, s10, v3
	s_delay_alu instid0(VALU_DEP_1) | instskip(NEXT) | instid1(VALU_DEP_1)
	v_mul_lo_u32 v3, v3, s8
	v_sub_nc_u32_e32 v3, v37, v3
	s_delay_alu instid0(VALU_DEP_1) | instskip(NEXT) | instid1(VALU_DEP_1)
	v_mad_u64_u32 v[37:38], null, v3, s21, v[4:5]
	v_mov_b32_e32 v4, v37
.LBB7_48:                               ;   in Loop: Header=BB7_9 Depth=1
	v_mul_f32_e32 v3, 0.15915494, v7
	s_delay_alu instid0(VALU_DEP_1) | instskip(SKIP_2) | instid1(VALU_DEP_1)
	v_cos_f32_e32 v3, v3
	s_waitcnt_depctr 0xfff
	v_mul_f32_e32 v3, v3, v13
	v_fma_f32 v3, v3, s15, s14
	s_delay_alu instid0(VALU_DEP_1) | instskip(SKIP_1) | instid1(VALU_DEP_2)
	v_mul_f32_e32 v7, 0x3fb8aa3b, v3
	v_cmp_ngt_f32_e32 vcc_lo, 0xc2ce8ed0, v3
	v_fma_f32 v13, 0x3fb8aa3b, v3, -v7
	v_rndne_f32_e32 v37, v7
	s_delay_alu instid0(VALU_DEP_2) | instskip(NEXT) | instid1(VALU_DEP_2)
	v_fmac_f32_e32 v13, 0x32a5705f, v3
	v_sub_f32_e32 v7, v7, v37
	s_delay_alu instid0(VALU_DEP_1) | instskip(SKIP_1) | instid1(VALU_DEP_2)
	v_add_f32_e32 v7, v7, v13
	v_cvt_i32_f32_e32 v13, v37
	v_exp_f32_e32 v7, v7
	s_waitcnt_depctr 0xfff
	v_ldexp_f32 v7, v7, v13
	s_delay_alu instid0(VALU_DEP_1) | instskip(SKIP_1) | instid1(VALU_DEP_2)
	v_cndmask_b32_e32 v7, 0, v7, vcc_lo
	v_cmp_nlt_f32_e32 vcc_lo, 0x42b17218, v3
	v_cndmask_b32_e32 v3, 0x7f800000, v7, vcc_lo
	global_store_b32 v4, v3, s[12:13]
.LBB7_49:                               ;   in Loop: Header=BB7_9 Depth=1
	s_or_b32 exec_lo, exec_lo, s37
	v_cvt_f32_u32_e32 v3, v5
	v_cvt_f32_u32_e32 v6, v6
	s_mov_b32 s37, exec_lo
	s_delay_alu instid0(VALU_DEP_2) | instskip(NEXT) | instid1(VALU_DEP_1)
	v_fmaak_f32 v3, 0x2f800000, v3, 0x2f800000
	v_cmp_gt_f32_e32 vcc_lo, 0x800000, v3
	v_cndmask_b32_e64 v4, 1.0, 0x4f800000, vcc_lo
	s_delay_alu instid0(VALU_DEP_1) | instskip(NEXT) | instid1(VALU_DEP_1)
	v_mul_f32_e32 v3, v3, v4
	v_log_f32_e32 v3, v3
	s_waitcnt_depctr 0xfff
	v_mul_f32_e32 v4, 0x3f317217, v3
	s_delay_alu instid0(VALU_DEP_1) | instskip(NEXT) | instid1(VALU_DEP_1)
	v_fma_f32 v5, 0x3f317217, v3, -v4
	v_fmac_f32_e32 v5, 0x3377d1cf, v3
	s_delay_alu instid0(VALU_DEP_1) | instskip(SKIP_2) | instid1(VALU_DEP_3)
	v_add_f32_e32 v4, v4, v5
	v_cndmask_b32_e64 v5, 0, 0x41b17218, vcc_lo
	v_cmp_gt_f32_e64 vcc_lo, 0x7f800000, |v3|
	v_cndmask_b32_e32 v3, v3, v4, vcc_lo
	s_delay_alu instid0(VALU_DEP_1) | instskip(NEXT) | instid1(VALU_DEP_1)
	v_sub_f32_e32 v3, v3, v5
	v_mul_f32_e32 v3, -2.0, v3
	s_delay_alu instid0(VALU_DEP_1) | instskip(SKIP_1) | instid1(VALU_DEP_1)
	v_cmp_gt_f32_e32 vcc_lo, 0xf800000, v3
	v_mul_f32_e32 v4, 0x4f800000, v3
	v_cndmask_b32_e32 v7, v3, v4, vcc_lo
	s_delay_alu instid0(VALU_DEP_1) | instskip(SKIP_3) | instid1(VALU_DEP_2)
	v_sqrt_f32_e32 v3, v7
	s_waitcnt_depctr 0xfff
	v_add_nc_u32_e32 v4, -1, v3
	v_add_nc_u32_e32 v5, 1, v3
	v_fma_f32 v13, -v4, v3, v7
	s_delay_alu instid0(VALU_DEP_2) | instskip(NEXT) | instid1(VALU_DEP_2)
	v_fma_f32 v37, -v5, v3, v7
	v_cmp_ge_f32_e64 s0, 0, v13
	s_delay_alu instid0(VALU_DEP_1) | instskip(NEXT) | instid1(VALU_DEP_3)
	v_cndmask_b32_e64 v3, v3, v4, s0
	v_cmp_lt_f32_e64 s0, 0, v37
	s_delay_alu instid0(VALU_DEP_1) | instskip(SKIP_1) | instid1(VALU_DEP_1)
	v_cndmask_b32_e64 v5, v3, v5, s0
	v_add_co_u32 v3, s0, v10, s30
	v_add_co_ci_u32_e64 v4, s0, 0, v11, s0
	s_delay_alu instid0(VALU_DEP_3) | instskip(SKIP_1) | instid1(VALU_DEP_2)
	v_mul_f32_e32 v13, 0x37800000, v5
	v_cmp_class_f32_e64 s0, v7, 0x260
	v_cndmask_b32_e32 v13, v5, v13, vcc_lo
	v_fmaak_f32 v5, 0x30c90fdb, v6, 0x30c90fdb
	s_delay_alu instid0(VALU_DEP_2)
	v_cndmask_b32_e64 v6, v13, v7, s0
	v_cmpx_gt_i64_e64 s[16:17], v[3:4]
	s_cbranch_execz .LBB7_64
; %bb.50:                               ;   in Loop: Header=BB7_9 Depth=1
	s_and_not1_b32 vcc_lo, exec_lo, s11
	s_cbranch_vccnz .LBB7_56
; %bb.51:                               ;   in Loop: Header=BB7_9 Depth=1
	v_mov_b32_e32 v4, 0
	s_and_not1_b32 vcc_lo, exec_lo, s29
	s_cbranch_vccnz .LBB7_60
; %bb.52:                               ;   in Loop: Header=BB7_9 Depth=1
	s_and_not1_b32 vcc_lo, exec_lo, s33
	s_mov_b32 s0, 0
	s_cbranch_vccnz .LBB7_57
; %bb.53:                               ;   in Loop: Header=BB7_9 Depth=1
	v_dual_mov_b32 v4, 0 :: v_dual_mov_b32 v7, v3
	s_mov_b32 s38, 0
	s_mov_b64 s[0:1], s[18:19]
	s_mov_b64 s[24:25], s[22:23]
.LBB7_54:                               ;   Parent Loop BB7_9 Depth=1
                                        ; =>  This Inner Loop Header: Depth=2
	s_clause 0x1
	s_load_b256 s[40:47], s[0:1], 0x4
	s_load_b128 s[48:51], s[0:1], 0x24
	s_load_b128 s[52:55], s[24:25], 0x0
	s_add_u32 s0, s0, 48
	s_addc_u32 s1, s1, 0
	s_add_i32 s38, s38, 4
	s_add_u32 s24, s24, 16
	s_addc_u32 s25, s25, 0
	s_cmp_eq_u32 s34, s38
	s_waitcnt lgkmcnt(0)
	v_mul_hi_u32 v13, s41, v7
	s_delay_alu instid0(VALU_DEP_1) | instskip(NEXT) | instid1(VALU_DEP_1)
	v_add_nc_u32_e32 v13, v7, v13
	v_lshrrev_b32_e32 v13, s42, v13
	s_delay_alu instid0(VALU_DEP_1) | instskip(SKIP_1) | instid1(VALU_DEP_2)
	v_mul_hi_u32 v37, s44, v13
	v_mul_lo_u32 v40, v13, s40
	v_add_nc_u32_e32 v37, v13, v37
	s_delay_alu instid0(VALU_DEP_2) | instskip(NEXT) | instid1(VALU_DEP_2)
	v_sub_nc_u32_e32 v40, v7, v40
	v_lshrrev_b32_e32 v37, s45, v37
	s_delay_alu instid0(VALU_DEP_2) | instskip(NEXT) | instid1(VALU_DEP_2)
	v_mul_lo_u32 v40, v40, s52
	v_mul_hi_u32 v38, s47, v37
	v_mul_lo_u32 v41, v37, s43
	s_delay_alu instid0(VALU_DEP_2) | instskip(NEXT) | instid1(VALU_DEP_2)
	v_add_nc_u32_e32 v38, v37, v38
	v_sub_nc_u32_e32 v13, v13, v41
	s_delay_alu instid0(VALU_DEP_2) | instskip(NEXT) | instid1(VALU_DEP_2)
	v_lshrrev_b32_e32 v38, s48, v38
	v_mul_lo_u32 v13, v13, s53
	s_delay_alu instid0(VALU_DEP_2) | instskip(NEXT) | instid1(VALU_DEP_2)
	v_mul_hi_u32 v39, s50, v38
	v_add3_u32 v4, v40, v4, v13
	s_delay_alu instid0(VALU_DEP_2) | instskip(NEXT) | instid1(VALU_DEP_1)
	v_add_nc_u32_e32 v39, v38, v39
	v_lshrrev_b32_e32 v7, s51, v39
	v_mul_lo_u32 v39, v38, s46
	s_delay_alu instid0(VALU_DEP_2) | instskip(NEXT) | instid1(VALU_DEP_2)
	v_mul_lo_u32 v42, v7, s49
	v_sub_nc_u32_e32 v37, v37, v39
	s_delay_alu instid0(VALU_DEP_2) | instskip(NEXT) | instid1(VALU_DEP_2)
	v_sub_nc_u32_e32 v38, v38, v42
	v_mul_lo_u32 v37, v37, s54
	s_delay_alu instid0(VALU_DEP_2) | instskip(NEXT) | instid1(VALU_DEP_1)
	v_mul_lo_u32 v38, v38, s55
	v_add3_u32 v4, v37, v4, v38
	s_cbranch_scc0 .LBB7_54
; %bb.55:                               ;   in Loop: Header=BB7_9 Depth=1
	s_mov_b32 s0, s34
	s_and_not1_b32 vcc_lo, exec_lo, s36
	s_cbranch_vccz .LBB7_58
	s_branch .LBB7_60
.LBB7_56:                               ;   in Loop: Header=BB7_9 Depth=1
                                        ; implicit-def: $vgpr4
	s_branch .LBB7_61
.LBB7_57:                               ;   in Loop: Header=BB7_9 Depth=1
	v_mov_b32_e32 v7, v3
	s_and_not1_b32 vcc_lo, exec_lo, s36
	s_cbranch_vccnz .LBB7_60
.LBB7_58:                               ;   in Loop: Header=BB7_9 Depth=1
	s_lshl_b32 s1, s0, 2
	s_mul_i32 s24, s0, 12
	s_add_u32 s0, s22, s1
	s_addc_u32 s1, s23, 0
	s_add_u32 s24, s18, s24
	s_addc_u32 s25, s19, 0
	s_mov_b32 s38, s31
	.p2align	6
.LBB7_59:                               ;   Parent Loop BB7_9 Depth=1
                                        ; =>  This Inner Loop Header: Depth=2
	s_clause 0x1
	s_load_b64 s[40:41], s[24:25], 0x4
	s_load_b32 s39, s[24:25], 0xc
	s_add_u32 s24, s24, 12
	s_addc_u32 s25, s25, 0
	s_waitcnt lgkmcnt(0)
	v_mul_hi_u32 v13, s41, v7
	s_load_b32 s41, s[0:1], 0x0
	s_add_u32 s0, s0, 4
	s_addc_u32 s1, s1, 0
	s_add_i32 s38, s38, -1
	s_delay_alu instid0(SALU_CYCLE_1) | instskip(NEXT) | instid1(VALU_DEP_1)
	s_cmp_lg_u32 s38, 0
	v_add_nc_u32_e32 v13, v7, v13
	s_delay_alu instid0(VALU_DEP_1) | instskip(NEXT) | instid1(VALU_DEP_1)
	v_lshrrev_b32_e32 v13, s39, v13
	v_mul_lo_u32 v37, v13, s40
	s_delay_alu instid0(VALU_DEP_1) | instskip(SKIP_1) | instid1(VALU_DEP_1)
	v_sub_nc_u32_e32 v7, v7, v37
	s_waitcnt lgkmcnt(0)
	v_mad_u64_u32 v[37:38], null, v7, s41, v[4:5]
	v_mov_b32_e32 v7, v13
	s_delay_alu instid0(VALU_DEP_2)
	v_mov_b32_e32 v4, v37
	s_cbranch_scc1 .LBB7_59
.LBB7_60:                               ;   in Loop: Header=BB7_9 Depth=1
	s_cbranch_execnz .LBB7_63
.LBB7_61:                               ;   in Loop: Header=BB7_9 Depth=1
	v_mul_hi_u32 v4, v3, s6
	s_and_not1_b32 vcc_lo, exec_lo, s4
	s_delay_alu instid0(VALU_DEP_1) | instskip(NEXT) | instid1(VALU_DEP_1)
	v_add_nc_u32_e32 v4, v4, v3
	v_lshrrev_b32_e32 v7, s7, v4
	s_delay_alu instid0(VALU_DEP_1) | instskip(NEXT) | instid1(VALU_DEP_1)
	v_mul_lo_u32 v4, v7, s5
	v_sub_nc_u32_e32 v3, v3, v4
	s_delay_alu instid0(VALU_DEP_1)
	v_mul_lo_u32 v4, v3, s20
	s_cbranch_vccnz .LBB7_63
; %bb.62:                               ;   in Loop: Header=BB7_9 Depth=1
	v_mul_hi_u32 v3, s9, v7
	s_delay_alu instid0(VALU_DEP_1) | instskip(NEXT) | instid1(VALU_DEP_1)
	v_add_nc_u32_e32 v3, v7, v3
	v_lshrrev_b32_e32 v3, s10, v3
	s_delay_alu instid0(VALU_DEP_1) | instskip(NEXT) | instid1(VALU_DEP_1)
	v_mul_lo_u32 v3, v3, s8
	v_sub_nc_u32_e32 v3, v7, v3
	s_delay_alu instid0(VALU_DEP_1) | instskip(NEXT) | instid1(VALU_DEP_1)
	v_mad_u64_u32 v[37:38], null, v3, s21, v[4:5]
	v_mov_b32_e32 v4, v37
.LBB7_63:                               ;   in Loop: Header=BB7_9 Depth=1
	v_mul_f32_e32 v3, 0.15915494, v5
	s_delay_alu instid0(VALU_DEP_1) | instskip(SKIP_2) | instid1(VALU_DEP_1)
	v_sin_f32_e32 v3, v3
	s_waitcnt_depctr 0xfff
	v_mul_f32_e32 v3, v3, v6
	v_fma_f32 v3, v3, s15, s14
	s_delay_alu instid0(VALU_DEP_1) | instskip(SKIP_1) | instid1(VALU_DEP_2)
	v_mul_f32_e32 v7, 0x3fb8aa3b, v3
	v_cmp_ngt_f32_e32 vcc_lo, 0xc2ce8ed0, v3
	v_fma_f32 v13, 0x3fb8aa3b, v3, -v7
	v_rndne_f32_e32 v37, v7
	s_delay_alu instid0(VALU_DEP_2) | instskip(NEXT) | instid1(VALU_DEP_2)
	v_fmac_f32_e32 v13, 0x32a5705f, v3
	v_sub_f32_e32 v7, v7, v37
	s_delay_alu instid0(VALU_DEP_1) | instskip(SKIP_1) | instid1(VALU_DEP_2)
	v_add_f32_e32 v7, v7, v13
	v_cvt_i32_f32_e32 v13, v37
	v_exp_f32_e32 v7, v7
	s_waitcnt_depctr 0xfff
	v_ldexp_f32 v7, v7, v13
	s_delay_alu instid0(VALU_DEP_1) | instskip(SKIP_1) | instid1(VALU_DEP_2)
	v_cndmask_b32_e32 v7, 0, v7, vcc_lo
	v_cmp_nlt_f32_e32 vcc_lo, 0x42b17218, v3
	v_cndmask_b32_e32 v3, 0x7f800000, v7, vcc_lo
	global_store_b32 v4, v3, s[12:13]
.LBB7_64:                               ;   in Loop: Header=BB7_9 Depth=1
	s_or_b32 exec_lo, exec_lo, s37
	v_add_co_u32 v3, vcc_lo, v10, s35
	v_add_co_ci_u32_e32 v4, vcc_lo, 0, v11, vcc_lo
	s_mov_b32 s37, exec_lo
	s_delay_alu instid0(VALU_DEP_1)
	v_cmpx_gt_i64_e64 s[16:17], v[3:4]
	s_cbranch_execz .LBB7_8
; %bb.65:                               ;   in Loop: Header=BB7_9 Depth=1
	s_and_not1_b32 vcc_lo, exec_lo, s11
	s_cbranch_vccnz .LBB7_71
; %bb.66:                               ;   in Loop: Header=BB7_9 Depth=1
	v_mov_b32_e32 v4, 0
	s_and_not1_b32 vcc_lo, exec_lo, s29
	s_cbranch_vccnz .LBB7_75
; %bb.67:                               ;   in Loop: Header=BB7_9 Depth=1
	s_and_not1_b32 vcc_lo, exec_lo, s33
	s_mov_b32 s0, 0
	s_cbranch_vccnz .LBB7_72
; %bb.68:                               ;   in Loop: Header=BB7_9 Depth=1
	v_dual_mov_b32 v4, 0 :: v_dual_mov_b32 v7, v3
	s_mov_b32 s38, 0
	s_mov_b64 s[0:1], s[18:19]
	s_mov_b64 s[24:25], s[22:23]
.LBB7_69:                               ;   Parent Loop BB7_9 Depth=1
                                        ; =>  This Inner Loop Header: Depth=2
	s_clause 0x1
	s_load_b256 s[40:47], s[0:1], 0x4
	s_load_b128 s[48:51], s[0:1], 0x24
	s_load_b128 s[52:55], s[24:25], 0x0
	s_add_u32 s0, s0, 48
	s_addc_u32 s1, s1, 0
	s_add_i32 s38, s38, 4
	s_add_u32 s24, s24, 16
	s_addc_u32 s25, s25, 0
	s_cmp_eq_u32 s34, s38
	s_waitcnt lgkmcnt(0)
	v_mul_hi_u32 v13, s41, v7
	s_delay_alu instid0(VALU_DEP_1) | instskip(NEXT) | instid1(VALU_DEP_1)
	v_add_nc_u32_e32 v13, v7, v13
	v_lshrrev_b32_e32 v13, s42, v13
	s_delay_alu instid0(VALU_DEP_1) | instskip(SKIP_1) | instid1(VALU_DEP_2)
	v_mul_hi_u32 v37, s44, v13
	v_mul_lo_u32 v40, v13, s40
	v_add_nc_u32_e32 v37, v13, v37
	s_delay_alu instid0(VALU_DEP_2) | instskip(NEXT) | instid1(VALU_DEP_2)
	v_sub_nc_u32_e32 v40, v7, v40
	v_lshrrev_b32_e32 v37, s45, v37
	s_delay_alu instid0(VALU_DEP_2) | instskip(NEXT) | instid1(VALU_DEP_2)
	v_mul_lo_u32 v40, v40, s52
	v_mul_hi_u32 v38, s47, v37
	v_mul_lo_u32 v41, v37, s43
	s_delay_alu instid0(VALU_DEP_2) | instskip(NEXT) | instid1(VALU_DEP_2)
	v_add_nc_u32_e32 v38, v37, v38
	v_sub_nc_u32_e32 v13, v13, v41
	s_delay_alu instid0(VALU_DEP_2) | instskip(NEXT) | instid1(VALU_DEP_2)
	v_lshrrev_b32_e32 v38, s48, v38
	v_mul_lo_u32 v13, v13, s53
	s_delay_alu instid0(VALU_DEP_2) | instskip(NEXT) | instid1(VALU_DEP_2)
	v_mul_hi_u32 v39, s50, v38
	v_add3_u32 v4, v40, v4, v13
	s_delay_alu instid0(VALU_DEP_2) | instskip(NEXT) | instid1(VALU_DEP_1)
	v_add_nc_u32_e32 v39, v38, v39
	v_lshrrev_b32_e32 v7, s51, v39
	v_mul_lo_u32 v39, v38, s46
	s_delay_alu instid0(VALU_DEP_2) | instskip(NEXT) | instid1(VALU_DEP_2)
	v_mul_lo_u32 v42, v7, s49
	v_sub_nc_u32_e32 v37, v37, v39
	s_delay_alu instid0(VALU_DEP_2) | instskip(NEXT) | instid1(VALU_DEP_2)
	v_sub_nc_u32_e32 v38, v38, v42
	v_mul_lo_u32 v37, v37, s54
	s_delay_alu instid0(VALU_DEP_2) | instskip(NEXT) | instid1(VALU_DEP_1)
	v_mul_lo_u32 v38, v38, s55
	v_add3_u32 v4, v37, v4, v38
	s_cbranch_scc0 .LBB7_69
; %bb.70:                               ;   in Loop: Header=BB7_9 Depth=1
	s_mov_b32 s0, s34
	s_and_not1_b32 vcc_lo, exec_lo, s36
	s_cbranch_vccz .LBB7_73
	s_branch .LBB7_75
.LBB7_71:                               ;   in Loop: Header=BB7_9 Depth=1
                                        ; implicit-def: $vgpr4
	s_branch .LBB7_76
.LBB7_72:                               ;   in Loop: Header=BB7_9 Depth=1
	v_mov_b32_e32 v7, v3
	s_and_not1_b32 vcc_lo, exec_lo, s36
	s_cbranch_vccnz .LBB7_75
.LBB7_73:                               ;   in Loop: Header=BB7_9 Depth=1
	s_lshl_b32 s1, s0, 2
	s_mul_i32 s24, s0, 12
	s_add_u32 s0, s22, s1
	s_addc_u32 s1, s23, 0
	s_add_u32 s24, s18, s24
	s_addc_u32 s25, s19, 0
	s_mov_b32 s38, s31
	.p2align	6
.LBB7_74:                               ;   Parent Loop BB7_9 Depth=1
                                        ; =>  This Inner Loop Header: Depth=2
	s_clause 0x1
	s_load_b64 s[40:41], s[24:25], 0x4
	s_load_b32 s39, s[24:25], 0xc
	s_add_u32 s24, s24, 12
	s_addc_u32 s25, s25, 0
	s_waitcnt lgkmcnt(0)
	v_mul_hi_u32 v13, s41, v7
	s_load_b32 s41, s[0:1], 0x0
	s_add_u32 s0, s0, 4
	s_addc_u32 s1, s1, 0
	s_add_i32 s38, s38, -1
	s_delay_alu instid0(SALU_CYCLE_1) | instskip(NEXT) | instid1(VALU_DEP_1)
	s_cmp_lg_u32 s38, 0
	v_add_nc_u32_e32 v13, v7, v13
	s_delay_alu instid0(VALU_DEP_1) | instskip(NEXT) | instid1(VALU_DEP_1)
	v_lshrrev_b32_e32 v13, s39, v13
	v_mul_lo_u32 v37, v13, s40
	s_delay_alu instid0(VALU_DEP_1) | instskip(SKIP_1) | instid1(VALU_DEP_1)
	v_sub_nc_u32_e32 v7, v7, v37
	s_waitcnt lgkmcnt(0)
	v_mad_u64_u32 v[37:38], null, v7, s41, v[4:5]
	v_mov_b32_e32 v7, v13
	s_delay_alu instid0(VALU_DEP_2)
	v_mov_b32_e32 v4, v37
	s_cbranch_scc1 .LBB7_74
.LBB7_75:                               ;   in Loop: Header=BB7_9 Depth=1
	s_cbranch_execnz .LBB7_7
.LBB7_76:                               ;   in Loop: Header=BB7_9 Depth=1
	v_mul_hi_u32 v4, v3, s6
	s_and_not1_b32 vcc_lo, exec_lo, s4
	s_delay_alu instid0(VALU_DEP_1) | instskip(NEXT) | instid1(VALU_DEP_1)
	v_add_nc_u32_e32 v4, v4, v3
	v_lshrrev_b32_e32 v7, s7, v4
	s_delay_alu instid0(VALU_DEP_1) | instskip(NEXT) | instid1(VALU_DEP_1)
	v_mul_lo_u32 v4, v7, s5
	v_sub_nc_u32_e32 v3, v3, v4
	s_delay_alu instid0(VALU_DEP_1)
	v_mul_lo_u32 v4, v3, s20
	s_cbranch_vccnz .LBB7_7
; %bb.77:                               ;   in Loop: Header=BB7_9 Depth=1
	v_mul_hi_u32 v3, s9, v7
	s_delay_alu instid0(VALU_DEP_1) | instskip(NEXT) | instid1(VALU_DEP_1)
	v_add_nc_u32_e32 v3, v7, v3
	v_lshrrev_b32_e32 v3, s10, v3
	s_delay_alu instid0(VALU_DEP_1) | instskip(NEXT) | instid1(VALU_DEP_1)
	v_mul_lo_u32 v3, v3, s8
	v_sub_nc_u32_e32 v3, v7, v3
	s_delay_alu instid0(VALU_DEP_1) | instskip(NEXT) | instid1(VALU_DEP_1)
	v_mad_u64_u32 v[37:38], null, v3, s21, v[4:5]
	v_mov_b32_e32 v4, v37
	s_branch .LBB7_7
.LBB7_78:
	s_endpgm
.LBB7_79:
                                        ; implicit-def: $sgpr2_sgpr3
	s_branch .LBB7_4
	.section	.rodata,"a",@progbits
	.p2align	6, 0x0
	.amdhsa_kernel _ZN2at6native12_GLOBAL__N_143distribution_elementwise_grid_stride_kernelIfLi4EZNS0_9templates4cuda20normal_and_transformIffPNS_17CUDAGeneratorImplEZZZNS4_17log_normal_kernelIS7_EEvRNS_18TensorIteratorBaseEddT_ENKUlvE_clEvENKUlvE0_clEvEUlfE_EEvSA_T1_T2_EUlP25hiprandStatePhilox4_32_10E0_ZNS1_27distribution_nullary_kernelIff15HIP_vector_typeIfLj4EES7_SJ_SE_EEvSA_SG_RKT3_T4_EUlifE0_EEvlNS_15PhiloxCudaStateESF_SG_
		.amdhsa_group_segment_fixed_size 0
		.amdhsa_private_segment_fixed_size 0
		.amdhsa_kernarg_size 584
		.amdhsa_user_sgpr_count 15
		.amdhsa_user_sgpr_dispatch_ptr 0
		.amdhsa_user_sgpr_queue_ptr 0
		.amdhsa_user_sgpr_kernarg_segment_ptr 1
		.amdhsa_user_sgpr_dispatch_id 0
		.amdhsa_user_sgpr_private_segment_size 0
		.amdhsa_wavefront_size32 1
		.amdhsa_uses_dynamic_stack 0
		.amdhsa_enable_private_segment 0
		.amdhsa_system_sgpr_workgroup_id_x 1
		.amdhsa_system_sgpr_workgroup_id_y 0
		.amdhsa_system_sgpr_workgroup_id_z 0
		.amdhsa_system_sgpr_workgroup_info 0
		.amdhsa_system_vgpr_workitem_id 0
		.amdhsa_next_free_vgpr 45
		.amdhsa_next_free_sgpr 56
		.amdhsa_reserve_vcc 1
		.amdhsa_float_round_mode_32 0
		.amdhsa_float_round_mode_16_64 0
		.amdhsa_float_denorm_mode_32 3
		.amdhsa_float_denorm_mode_16_64 3
		.amdhsa_dx10_clamp 1
		.amdhsa_ieee_mode 1
		.amdhsa_fp16_overflow 0
		.amdhsa_workgroup_processor_mode 1
		.amdhsa_memory_ordered 1
		.amdhsa_forward_progress 0
		.amdhsa_shared_vgpr_count 0
		.amdhsa_exception_fp_ieee_invalid_op 0
		.amdhsa_exception_fp_denorm_src 0
		.amdhsa_exception_fp_ieee_div_zero 0
		.amdhsa_exception_fp_ieee_overflow 0
		.amdhsa_exception_fp_ieee_underflow 0
		.amdhsa_exception_fp_ieee_inexact 0
		.amdhsa_exception_int_div_zero 0
	.end_amdhsa_kernel
	.section	.text._ZN2at6native12_GLOBAL__N_143distribution_elementwise_grid_stride_kernelIfLi4EZNS0_9templates4cuda20normal_and_transformIffPNS_17CUDAGeneratorImplEZZZNS4_17log_normal_kernelIS7_EEvRNS_18TensorIteratorBaseEddT_ENKUlvE_clEvENKUlvE0_clEvEUlfE_EEvSA_T1_T2_EUlP25hiprandStatePhilox4_32_10E0_ZNS1_27distribution_nullary_kernelIff15HIP_vector_typeIfLj4EES7_SJ_SE_EEvSA_SG_RKT3_T4_EUlifE0_EEvlNS_15PhiloxCudaStateESF_SG_,"axG",@progbits,_ZN2at6native12_GLOBAL__N_143distribution_elementwise_grid_stride_kernelIfLi4EZNS0_9templates4cuda20normal_and_transformIffPNS_17CUDAGeneratorImplEZZZNS4_17log_normal_kernelIS7_EEvRNS_18TensorIteratorBaseEddT_ENKUlvE_clEvENKUlvE0_clEvEUlfE_EEvSA_T1_T2_EUlP25hiprandStatePhilox4_32_10E0_ZNS1_27distribution_nullary_kernelIff15HIP_vector_typeIfLj4EES7_SJ_SE_EEvSA_SG_RKT3_T4_EUlifE0_EEvlNS_15PhiloxCudaStateESF_SG_,comdat
.Lfunc_end7:
	.size	_ZN2at6native12_GLOBAL__N_143distribution_elementwise_grid_stride_kernelIfLi4EZNS0_9templates4cuda20normal_and_transformIffPNS_17CUDAGeneratorImplEZZZNS4_17log_normal_kernelIS7_EEvRNS_18TensorIteratorBaseEddT_ENKUlvE_clEvENKUlvE0_clEvEUlfE_EEvSA_T1_T2_EUlP25hiprandStatePhilox4_32_10E0_ZNS1_27distribution_nullary_kernelIff15HIP_vector_typeIfLj4EES7_SJ_SE_EEvSA_SG_RKT3_T4_EUlifE0_EEvlNS_15PhiloxCudaStateESF_SG_, .Lfunc_end7-_ZN2at6native12_GLOBAL__N_143distribution_elementwise_grid_stride_kernelIfLi4EZNS0_9templates4cuda20normal_and_transformIffPNS_17CUDAGeneratorImplEZZZNS4_17log_normal_kernelIS7_EEvRNS_18TensorIteratorBaseEddT_ENKUlvE_clEvENKUlvE0_clEvEUlfE_EEvSA_T1_T2_EUlP25hiprandStatePhilox4_32_10E0_ZNS1_27distribution_nullary_kernelIff15HIP_vector_typeIfLj4EES7_SJ_SE_EEvSA_SG_RKT3_T4_EUlifE0_EEvlNS_15PhiloxCudaStateESF_SG_
                                        ; -- End function
	.section	.AMDGPU.csdata,"",@progbits
; Kernel info:
; codeLenInByte = 6204
; NumSgprs: 58
; NumVgprs: 45
; ScratchSize: 0
; MemoryBound: 0
; FloatMode: 240
; IeeeMode: 1
; LDSByteSize: 0 bytes/workgroup (compile time only)
; SGPRBlocks: 7
; VGPRBlocks: 5
; NumSGPRsForWavesPerEU: 58
; NumVGPRsForWavesPerEU: 45
; Occupancy: 16
; WaveLimiterHint : 1
; COMPUTE_PGM_RSRC2:SCRATCH_EN: 0
; COMPUTE_PGM_RSRC2:USER_SGPR: 15
; COMPUTE_PGM_RSRC2:TRAP_HANDLER: 0
; COMPUTE_PGM_RSRC2:TGID_X_EN: 1
; COMPUTE_PGM_RSRC2:TGID_Y_EN: 0
; COMPUTE_PGM_RSRC2:TGID_Z_EN: 0
; COMPUTE_PGM_RSRC2:TIDIG_COMP_CNT: 0
	.section	.text._ZN2at6native12_GLOBAL__N_143distribution_elementwise_grid_stride_kernelIfLi4EZNS0_9templates4cuda20normal_and_transformIN3c104HalfEfPNS_17CUDAGeneratorImplEZZZNS4_17log_normal_kernelIS9_EEvRNS_18TensorIteratorBaseEddT_ENKUlvE_clEvENKUlvE1_clEvEUlfE_EEvSC_T1_T2_EUlP25hiprandStatePhilox4_32_10E_ZNS1_27distribution_nullary_kernelIS7_f15HIP_vector_typeIdLj2EES9_SL_SG_EEvSC_SI_RKT3_T4_EUlifE_EEvlNS_15PhiloxCudaStateESH_SI_,"axG",@progbits,_ZN2at6native12_GLOBAL__N_143distribution_elementwise_grid_stride_kernelIfLi4EZNS0_9templates4cuda20normal_and_transformIN3c104HalfEfPNS_17CUDAGeneratorImplEZZZNS4_17log_normal_kernelIS9_EEvRNS_18TensorIteratorBaseEddT_ENKUlvE_clEvENKUlvE1_clEvEUlfE_EEvSC_T1_T2_EUlP25hiprandStatePhilox4_32_10E_ZNS1_27distribution_nullary_kernelIS7_f15HIP_vector_typeIdLj2EES9_SL_SG_EEvSC_SI_RKT3_T4_EUlifE_EEvlNS_15PhiloxCudaStateESH_SI_,comdat
	.globl	_ZN2at6native12_GLOBAL__N_143distribution_elementwise_grid_stride_kernelIfLi4EZNS0_9templates4cuda20normal_and_transformIN3c104HalfEfPNS_17CUDAGeneratorImplEZZZNS4_17log_normal_kernelIS9_EEvRNS_18TensorIteratorBaseEddT_ENKUlvE_clEvENKUlvE1_clEvEUlfE_EEvSC_T1_T2_EUlP25hiprandStatePhilox4_32_10E_ZNS1_27distribution_nullary_kernelIS7_f15HIP_vector_typeIdLj2EES9_SL_SG_EEvSC_SI_RKT3_T4_EUlifE_EEvlNS_15PhiloxCudaStateESH_SI_ ; -- Begin function _ZN2at6native12_GLOBAL__N_143distribution_elementwise_grid_stride_kernelIfLi4EZNS0_9templates4cuda20normal_and_transformIN3c104HalfEfPNS_17CUDAGeneratorImplEZZZNS4_17log_normal_kernelIS9_EEvRNS_18TensorIteratorBaseEddT_ENKUlvE_clEvENKUlvE1_clEvEUlfE_EEvSC_T1_T2_EUlP25hiprandStatePhilox4_32_10E_ZNS1_27distribution_nullary_kernelIS7_f15HIP_vector_typeIdLj2EES9_SL_SG_EEvSC_SI_RKT3_T4_EUlifE_EEvlNS_15PhiloxCudaStateESH_SI_
	.p2align	8
	.type	_ZN2at6native12_GLOBAL__N_143distribution_elementwise_grid_stride_kernelIfLi4EZNS0_9templates4cuda20normal_and_transformIN3c104HalfEfPNS_17CUDAGeneratorImplEZZZNS4_17log_normal_kernelIS9_EEvRNS_18TensorIteratorBaseEddT_ENKUlvE_clEvENKUlvE1_clEvEUlfE_EEvSC_T1_T2_EUlP25hiprandStatePhilox4_32_10E_ZNS1_27distribution_nullary_kernelIS7_f15HIP_vector_typeIdLj2EES9_SL_SG_EEvSC_SI_RKT3_T4_EUlifE_EEvlNS_15PhiloxCudaStateESH_SI_,@function
_ZN2at6native12_GLOBAL__N_143distribution_elementwise_grid_stride_kernelIfLi4EZNS0_9templates4cuda20normal_and_transformIN3c104HalfEfPNS_17CUDAGeneratorImplEZZZNS4_17log_normal_kernelIS9_EEvRNS_18TensorIteratorBaseEddT_ENKUlvE_clEvENKUlvE1_clEvEUlfE_EEvSC_T1_T2_EUlP25hiprandStatePhilox4_32_10E_ZNS1_27distribution_nullary_kernelIS7_f15HIP_vector_typeIdLj2EES9_SL_SG_EEvSC_SI_RKT3_T4_EUlifE_EEvlNS_15PhiloxCudaStateESH_SI_: ; @_ZN2at6native12_GLOBAL__N_143distribution_elementwise_grid_stride_kernelIfLi4EZNS0_9templates4cuda20normal_and_transformIN3c104HalfEfPNS_17CUDAGeneratorImplEZZZNS4_17log_normal_kernelIS9_EEvRNS_18TensorIteratorBaseEddT_ENKUlvE_clEvENKUlvE1_clEvEUlfE_EEvSC_T1_T2_EUlP25hiprandStatePhilox4_32_10E_ZNS1_27distribution_nullary_kernelIS7_f15HIP_vector_typeIdLj2EES9_SL_SG_EEvSC_SI_RKT3_T4_EUlifE_EEvlNS_15PhiloxCudaStateESH_SI_
; %bb.0:
	s_clause 0x2
	s_load_b64 s[8:9], s[0:1], 0x10
	s_load_b128 s[4:7], s[0:1], 0x0
	s_load_b32 s2, s[0:1], 0x20
	s_waitcnt lgkmcnt(0)
	v_dual_mov_b32 v2, s8 :: v_dual_mov_b32 v3, s9
	v_dual_mov_b32 v11, s7 :: v_dual_mov_b32 v10, s6
	s_bitcmp0_b32 s2, 0
	s_mov_b32 s2, 0
	s_cbranch_scc1 .LBB8_2
; %bb.1:
	v_dual_mov_b32 v1, s8 :: v_dual_mov_b32 v2, s9
	v_dual_mov_b32 v4, s6 :: v_dual_mov_b32 v5, s7
	s_load_b64 s[6:7], s[0:1], 0x18
	flat_load_b64 v[2:3], v[1:2]
	flat_load_b64 v[10:11], v[4:5]
	s_waitcnt vmcnt(1) lgkmcnt(0)
	v_add_co_u32 v2, vcc_lo, v2, s6
	v_add_co_ci_u32_e32 v3, vcc_lo, s7, v3, vcc_lo
.LBB8_2:
	s_clause 0x1
	s_load_b32 s3, s[0:1], 0x54
	s_load_b32 s16, s[0:1], 0x48
	s_waitcnt lgkmcnt(0)
	s_and_b32 s14, s3, 0xffff
	s_add_u32 s6, s4, -1
	s_mul_i32 s33, s16, s14
	s_addc_u32 s3, s5, -1
	s_lshl_b32 s62, s33, 2
	s_cmp_lg_u64 s[2:3], 0
	s_cbranch_scc0 .LBB8_27
; %bb.3:
	v_cvt_f32_ubyte0_e32 v1, 0
	v_cvt_f32_u32_e32 v4, s62
	s_sub_u32 s8, 0, s62
	s_subb_u32 s9, 0, 0
	s_delay_alu instid0(VALU_DEP_1) | instskip(NEXT) | instid1(VALU_DEP_1)
	v_fmamk_f32 v1, v1, 0x4f800000, v4
	v_rcp_f32_e32 v1, v1
	s_waitcnt_depctr 0xfff
	v_mul_f32_e32 v1, 0x5f7ffffc, v1
	s_delay_alu instid0(VALU_DEP_1) | instskip(NEXT) | instid1(VALU_DEP_1)
	v_mul_f32_e32 v4, 0x2f800000, v1
	v_trunc_f32_e32 v4, v4
	s_delay_alu instid0(VALU_DEP_1) | instskip(SKIP_1) | instid1(VALU_DEP_2)
	v_fmamk_f32 v1, v4, 0xcf800000, v1
	v_cvt_u32_f32_e32 v4, v4
	v_cvt_u32_f32_e32 v1, v1
	s_delay_alu instid0(VALU_DEP_2) | instskip(NEXT) | instid1(VALU_DEP_2)
	v_readfirstlane_b32 s2, v4
	v_readfirstlane_b32 s7, v1
	s_delay_alu instid0(VALU_DEP_2) | instskip(NEXT) | instid1(VALU_DEP_1)
	s_mul_i32 s10, s8, s2
	s_mul_hi_u32 s12, s8, s7
	s_mul_i32 s11, s9, s7
	s_add_i32 s10, s12, s10
	s_mul_i32 s13, s8, s7
	s_add_i32 s10, s10, s11
	s_mul_hi_u32 s12, s7, s13
	s_mul_hi_u32 s17, s2, s13
	s_mul_i32 s11, s2, s13
	s_mul_hi_u32 s13, s7, s10
	s_mul_i32 s7, s7, s10
	s_mul_hi_u32 s18, s2, s10
	s_add_u32 s7, s12, s7
	s_addc_u32 s12, 0, s13
	s_add_u32 s7, s7, s11
	s_mul_i32 s10, s2, s10
	s_addc_u32 s7, s12, s17
	s_addc_u32 s11, s18, 0
	s_add_u32 s7, s7, s10
	s_addc_u32 s10, 0, s11
	v_add_co_u32 v1, s7, v1, s7
	s_delay_alu instid0(VALU_DEP_1) | instskip(SKIP_1) | instid1(VALU_DEP_1)
	s_cmp_lg_u32 s7, 0
	s_addc_u32 s2, s2, s10
	v_readfirstlane_b32 s7, v1
	s_mul_i32 s10, s8, s2
	s_delay_alu instid0(VALU_DEP_1)
	s_mul_hi_u32 s11, s8, s7
	s_mul_i32 s9, s9, s7
	s_add_i32 s10, s11, s10
	s_mul_i32 s8, s8, s7
	s_add_i32 s10, s10, s9
	s_mul_hi_u32 s11, s2, s8
	s_mul_i32 s12, s2, s8
	s_mul_hi_u32 s8, s7, s8
	s_mul_hi_u32 s13, s7, s10
	s_mul_i32 s7, s7, s10
	s_mul_hi_u32 s9, s2, s10
	s_add_u32 s7, s8, s7
	s_addc_u32 s8, 0, s13
	s_add_u32 s7, s7, s12
	s_mul_i32 s10, s2, s10
	s_addc_u32 s7, s8, s11
	s_addc_u32 s8, s9, 0
	s_add_u32 s7, s7, s10
	s_addc_u32 s8, 0, s8
	v_add_co_u32 v1, s7, v1, s7
	s_delay_alu instid0(VALU_DEP_1) | instskip(SKIP_2) | instid1(VALU_DEP_1)
	s_cmp_lg_u32 s7, 0
	s_addc_u32 s7, s2, s8
	s_ashr_i32 s8, s3, 31
	v_readfirstlane_b32 s10, v1
	s_add_u32 s2, s6, s8
	s_mov_b32 s9, s8
	s_addc_u32 s3, s3, s8
	s_delay_alu instid0(SALU_CYCLE_1) | instskip(NEXT) | instid1(SALU_CYCLE_1)
	s_xor_b64 s[2:3], s[2:3], s[8:9]
	s_mul_i32 s12, s2, s7
	s_mul_hi_u32 s13, s2, s10
	s_mul_hi_u32 s11, s2, s7
	;; [unrolled: 1-line block ×3, first 2 shown]
	s_mul_i32 s10, s3, s10
	s_add_u32 s12, s13, s12
	s_addc_u32 s11, 0, s11
	s_mul_hi_u32 s17, s3, s7
	s_add_u32 s10, s12, s10
	s_mul_i32 s7, s3, s7
	s_addc_u32 s10, s11, s18
	s_addc_u32 s11, s17, 0
	s_add_u32 s7, s10, s7
	s_addc_u32 s10, 0, s11
	s_mul_i32 s12, s62, s7
	s_add_u32 s11, s7, 1
	v_sub_co_u32 v1, s2, s2, s12
	s_mul_hi_u32 s12, s62, s7
	s_addc_u32 s13, s10, 0
	s_mul_i32 s17, s62, s10
	s_delay_alu instid0(VALU_DEP_1)
	v_sub_co_u32 v4, s18, v1, s62
	s_add_u32 s19, s7, 2
	s_addc_u32 s20, s10, 0
	s_add_i32 s12, s12, s17
	s_cmp_lg_u32 s2, 0
	v_readfirstlane_b32 s2, v4
	s_subb_u32 s3, s3, s12
	s_cmp_lg_u32 s18, 0
	s_subb_u32 s12, s3, 0
	s_delay_alu instid0(VALU_DEP_1) | instskip(SKIP_4) | instid1(SALU_CYCLE_1)
	s_cmp_ge_u32 s2, s62
	s_cselect_b32 s2, -1, 0
	s_cmp_eq_u32 s12, 0
	v_readfirstlane_b32 s12, v1
	s_cselect_b32 s2, s2, -1
	s_cmp_lg_u32 s2, 0
	s_cselect_b32 s2, s19, s11
	s_cselect_b32 s11, s20, s13
	s_cmp_ge_u32 s12, s62
	s_cselect_b32 s12, -1, 0
	s_cmp_eq_u32 s3, 0
	s_cselect_b32 s3, s12, -1
	s_delay_alu instid0(SALU_CYCLE_1) | instskip(SKIP_2) | instid1(SALU_CYCLE_1)
	s_cmp_lg_u32 s3, 0
	s_cselect_b32 s3, s11, s10
	s_cselect_b32 s2, s2, s7
	s_xor_b64 s[2:3], s[2:3], s[8:9]
	s_delay_alu instid0(SALU_CYCLE_1)
	s_sub_u32 s2, s2, s8
	s_subb_u32 s3, s3, s8
	s_cbranch_execnz .LBB8_5
.LBB8_4:
	v_cvt_f32_u32_e32 v1, s62
	s_sub_i32 s3, 0, s62
	s_delay_alu instid0(VALU_DEP_1) | instskip(SKIP_2) | instid1(VALU_DEP_1)
	v_rcp_iflag_f32_e32 v1, v1
	s_waitcnt_depctr 0xfff
	v_mul_f32_e32 v1, 0x4f7ffffe, v1
	v_cvt_u32_f32_e32 v1, v1
	s_delay_alu instid0(VALU_DEP_1) | instskip(NEXT) | instid1(VALU_DEP_1)
	v_readfirstlane_b32 s2, v1
	s_mul_i32 s3, s3, s2
	s_delay_alu instid0(SALU_CYCLE_1) | instskip(NEXT) | instid1(SALU_CYCLE_1)
	s_mul_hi_u32 s3, s2, s3
	s_add_i32 s2, s2, s3
	s_delay_alu instid0(SALU_CYCLE_1) | instskip(NEXT) | instid1(SALU_CYCLE_1)
	s_mul_hi_u32 s2, s6, s2
	s_mul_i32 s3, s2, s62
	s_delay_alu instid0(SALU_CYCLE_1)
	s_sub_i32 s3, s6, s3
	s_add_i32 s6, s2, 1
	s_sub_i32 s7, s3, s62
	s_cmp_ge_u32 s3, s62
	s_cselect_b32 s2, s6, s2
	s_cselect_b32 s3, s7, s3
	s_add_i32 s6, s2, 1
	s_cmp_ge_u32 s3, s62
	s_mov_b32 s3, 0
	s_cselect_b32 s2, s6, s2
.LBB8_5:
	v_mov_b32_e32 v1, 0
	s_add_u32 s2, s2, 1
	s_addc_u32 s3, s3, 0
	s_mul_hi_u32 s6, s33, s2
	s_mul_i32 s3, s33, s3
	v_mad_u64_u32 v[12:13], null, s14, s15, v[0:1]
	s_mul_hi_u32 s7, s16, s14
	s_add_i32 s3, s6, s3
	s_mul_i32 s7, s7, s2
	s_mul_i32 s2, s33, s2
	s_add_i32 s3, s3, s7
	s_mov_b32 s6, exec_lo
	s_lshl_b64 s[2:3], s[2:3], 2
	s_delay_alu instid0(SALU_CYCLE_1)
	v_cmpx_gt_i64_e64 s[2:3], v[12:13]
	s_cbranch_execz .LBB8_26
; %bb.6:
	v_alignbit_b32 v19, v3, v2, 2
	v_mad_u64_u32 v[6:7], null, 0xcd9e8d57, v12, 0
	v_lshrrev_b32_e32 v20, 2, v3
	s_waitcnt vmcnt(0)
	v_dual_mov_b32 v18, v11 :: v_dual_and_b32 v23, 3, v2
	v_mad_u64_u32 v[4:5], null, 0xd2511f53, v19, 0
	v_add_co_u32 v22, null, 0x9e3779b9, v10
	s_delay_alu instid0(VALU_DEP_3) | instskip(SKIP_1) | instid1(VALU_DEP_4)
	v_add_co_u32 v21, null, 0xbb67ae85, v18
	v_add_co_u32 v25, null, 0x3c6ef372, v10
	v_xor_b32_e32 v3, v5, v11
	v_xor3_b32 v5, v10, v7, v20
	v_add_co_u32 v26, null, 0x76cf5d0a, v18
	v_add_co_u32 v30, null, 0x32370b8f, v18
	s_delay_alu instid0(VALU_DEP_4) | instskip(NEXT) | instid1(VALU_DEP_4)
	v_xor_b32_e32 v3, v3, v13
	v_mad_u64_u32 v[7:8], null, 0xd2511f53, v5, 0
	v_add_co_u32 v29, null, 0xdaa66d2b, v10
	s_delay_alu instid0(VALU_DEP_3) | instskip(SKIP_1) | instid1(VALU_DEP_4)
	v_mad_u64_u32 v[14:15], null, 0xcd9e8d57, v3, 0
	v_add_co_u32 v32, null, 0x78dde6e4, v10
	v_xor3_b32 v4, v21, v8, v4
	v_add_co_u32 v35, null, 0xed9eba14, v18
	v_add_co_u32 v36, null, 0xa9066899, v18
	v_xor3_b32 v6, v22, v15, v6
	s_delay_alu instid0(VALU_DEP_4) | instskip(SKIP_1) | instid1(VALU_DEP_3)
	v_mad_u64_u32 v[2:3], null, 0xcd9e8d57, v4, 0
	v_add_co_u32 v31, null, 0x1715609d, v10
	v_mad_u64_u32 v[4:5], null, 0xd2511f53, v6, 0
	v_add_co_u32 v33, null, 0xb54cda56, v10
	s_delay_alu instid0(VALU_DEP_4) | instskip(SKIP_3) | instid1(VALU_DEP_4)
	v_xor3_b32 v3, v25, v3, v14
	v_add_co_u32 v37, null, 0x646e171e, v18
	v_dual_mov_b32 v16, 0x3fb8aa3b :: v_dual_mov_b32 v45, v12
	v_xor3_b32 v9, v26, v5, v7
	v_mad_u64_u32 v[5:6], null, 0xd2511f53, v3, 0
	s_clause 0x1
	s_load_b128 s[8:11], s[0:1], 0x38
	s_load_b64 s[6:7], s[0:1], 0x30
	s_mul_i32 s0, s16, 3
	v_mad_u64_u32 v[7:8], null, 0xcd9e8d57, v9, 0
	s_add_i32 s0, s15, s0
	v_add_co_u32 v38, null, 0x1fd5c5a3, v18
	v_xor3_b32 v4, v30, v6, v4
	v_add_co_u32 v28, null, 0x5384540f, v10
	s_delay_alu instid0(VALU_DEP_4) | instskip(SKIP_1) | instid1(VALU_DEP_4)
	v_xor3_b32 v6, v29, v8, v2
	v_rndne_f32_e32 v40, 0x7fc00000
	v_mad_u64_u32 v[2:3], null, 0xcd9e8d57, v4, 0
	v_dual_fmaak_f32 v17, s0, v16, 0xffc00000 :: v_dual_mov_b32 v46, v13
	s_delay_alu instid0(VALU_DEP_4) | instskip(SKIP_1) | instid1(VALU_DEP_2)
	v_mad_u64_u32 v[8:9], null, 0xd2511f53, v6, 0
	s_add_i32 s17, s15, s16
	v_fmac_f32_e64 v17, 0x32a5705f, s0
	s_delay_alu instid0(VALU_DEP_4) | instskip(SKIP_3) | instid1(VALU_DEP_4)
	v_xor3_b32 v6, v32, v3, v7
	v_mad_u64_u32 v[14:15], null, s15, s14, v[0:1]
	v_mad_u64_u32 v[15:16], null, s17, s14, v[0:1]
	v_xor3_b32 v7, v35, v9, v5
	v_mad_u64_u32 v[3:4], null, 0xd2511f53, v6, 0
	s_lshl_b32 s1, s16, 1
	v_add_co_u32 v34, null, 0xf1bbcdc8, v10
	s_delay_alu instid0(VALU_DEP_3) | instskip(SKIP_1) | instid1(VALU_DEP_4)
	v_mad_u64_u32 v[5:6], null, 0xcd9e8d57, v7, 0
	v_add_co_u32 v39, null, 0xdb3d7428, v18
	v_xor3_b32 v4, v36, v4, v8
	s_add_i32 s15, s15, s1
	s_mov_b32 s12, 0x55555555
	v_mad_u64_u32 v[42:43], null, s15, s14, v[0:1]
	s_delay_alu instid0(VALU_DEP_4)
	v_xor3_b32 v2, v31, v6, v2
	v_mad_u64_u32 v[6:7], null, 0xcd9e8d57, v4, 0
	s_waitcnt lgkmcnt(0)
	v_mul_lo_u32 v43, s8, v15
	s_mov_b32 s18, 0xd7f4df2e
	v_mad_u64_u32 v[8:9], null, 0xd2511f53, v2, 0
	v_mul_lo_u32 v42, s8, v42
	s_mov_b32 s20, 0x16291751
	s_delay_alu instid0(VALU_DEP_4) | instskip(SKIP_3) | instid1(VALU_DEP_3)
	v_xor3_b32 v4, v33, v7, v5
	s_mov_b32 s22, 0x9b27acf1
	s_mov_b32 s24, 0x998ef7b6
	;; [unrolled: 1-line block ×3, first 2 shown]
	v_xor3_b32 v7, v37, v9, v3
	v_mad_u64_u32 v[2:3], null, 0xd2511f53, v4, 0
	s_mov_b32 s28, 0x3b39803f
	s_mov_b32 s30, 0x6fdffd2b
	s_delay_alu instid0(VALU_DEP_2) | instskip(SKIP_2) | instid1(VALU_DEP_4)
	v_mad_u64_u32 v[4:5], null, 0xcd9e8d57, v7, 0
	v_sub_f32_e32 v7, 0x7fc00000, v40
	v_add_nc_u32_e32 v24, 0x8ff34781, v10
	v_xor3_b32 v3, v38, v3, v8
	v_mad_u64_u32 v[8:9], null, s0, s14, v[0:1]
	s_delay_alu instid0(VALU_DEP_4) | instskip(SKIP_1) | instid1(VALU_DEP_4)
	v_add_f32_e32 v7, v7, v17
	v_xor3_b32 v9, v28, v5, v6
	v_mad_u64_u32 v[5:6], null, 0xcd9e8d57, v3, 0
	s_mul_i32 s0, s16, s8
	s_delay_alu instid0(VALU_DEP_3) | instskip(NEXT) | instid1(VALU_DEP_2)
	v_exp_f32_e32 v0, v7
	v_mad_u64_u32 v[16:17], null, 0xd2511f53, v9, 0
	v_cvt_i32_f32_e32 v9, v40
	v_mul_lo_u32 v40, s8, v14
	s_delay_alu instid0(VALU_DEP_4)
	v_xor3_b32 v4, v34, v6, v4
	v_mul_lo_u32 v41, s8, v8
	s_mul_i32 s0, s0, s14
	s_mov_b32 s14, 0x6b47b09a
	v_xor3_b32 v14, v39, v17, v2
	v_mad_u64_u32 v[2:3], null, 0xd2511f53, v4, 0
	v_add_nc_u32_e32 v27, 0x96a522ad, v11
	v_ldexp_f32 v0, v0, v9
	s_delay_alu instid0(VALU_DEP_4) | instskip(SKIP_2) | instid1(VALU_DEP_4)
	v_mad_u64_u32 v[6:7], null, 0xcd9e8d57, v14, 0
	s_mov_b32 s16, 0xbf559e2b
	s_mov_b32 s34, 0xf99eb0bb
	v_mov_b32_e32 v8, v2
	v_cvt_f16_f32_e32 v44, v0
	s_mov_b32 s36, 0xd5f14825
	s_mov_b32 s38, 0xcdfe9424
	s_delay_alu instid0(VALU_DEP_3)
	v_xor3_b32 v5, v7, v5, v24
	v_xor3_b32 v7, v3, v16, v27
	s_mov_b32 s40, 0x67754fff
	s_mov_b32 s42, 0xe625be09
	;; [unrolled: 1-line block ×11, first 2 shown]
	s_lshl_b32 s63, s33, 1
	s_mul_i32 s64, s33, 3
	s_mov_b32 s13, 0x3fe55555
	s_mov_b32 s15, 0x3fc38538
	;; [unrolled: 1-line block ×23, first 2 shown]
	s_lshl_b32 s8, s0, 2
	s_mov_b32 s60, 0x55555780
	s_mov_b32 s65, 0
	s_branch .LBB8_8
.LBB8_7:                                ;   in Loop: Header=BB8_8 Depth=1
	s_or_b32 exec_lo, exec_lo, s0
	v_add_co_u32 v12, vcc_lo, v12, s62
	v_add_co_ci_u32_e32 v13, vcc_lo, 0, v13, vcc_lo
	v_mov_b32_e32 v5, v14
	s_add_i32 s65, s65, s8
	s_waitcnt_vscnt null, 0x0
	s_delay_alu instid0(VALU_DEP_2)
	v_cmp_le_i64_e32 vcc_lo, s[2:3], v[12:13]
	s_barrier
	v_mov_b32_e32 v8, v5
	v_dual_mov_b32 v7, v4 :: v_dual_mov_b32 v6, v3
	v_mov_b32_e32 v5, v2
	s_or_b32 s11, vcc_lo, s11
	buffer_gl0_inv
	s_and_not1_b32 exec_lo, exec_lo, s11
	s_cbranch_execz .LBB8_26
.LBB8_8:                                ; =>This Inner Loop Header: Depth=1
	v_add_co_u32 v19, vcc_lo, v19, 1
	s_delay_alu instid0(VALU_DEP_1) | instskip(SKIP_1) | instid1(VALU_DEP_3)
	v_cndmask_b32_e64 v0, 0, 1, vcc_lo
	v_add_co_ci_u32_e32 v20, vcc_lo, 0, v20, vcc_lo
	v_mad_u64_u32 v[2:3], null, 0xd2511f53, v19, 0
	s_mov_b32 s0, exec_lo
	s_delay_alu instid0(VALU_DEP_2) | instskip(SKIP_1) | instid1(VALU_DEP_1)
	v_cmp_eq_u32_e32 vcc_lo, 0, v20
	v_cndmask_b32_e32 v0, 0, v0, vcc_lo
	v_add_nc_u32_e32 v45, v0, v45
	s_delay_alu instid0(VALU_DEP_1) | instskip(SKIP_2) | instid1(VALU_DEP_2)
	v_cmp_eq_u32_e32 vcc_lo, 0, v45
	v_cndmask_b32_e32 v0, 0, v0, vcc_lo
	v_mad_u64_u32 v[14:15], null, 0xcd9e8d57, v45, 0
	v_add_nc_u32_e32 v46, v0, v46
	v_xor_b32_e32 v0, v3, v11
	s_delay_alu instid0(VALU_DEP_3) | instskip(NEXT) | instid1(VALU_DEP_2)
	v_xor3_b32 v9, v15, v10, v20
	v_xor_b32_e32 v0, v46, v0
	s_delay_alu instid0(VALU_DEP_2) | instskip(NEXT) | instid1(VALU_DEP_2)
	v_mad_u64_u32 v[3:4], null, 0xd2511f53, v9, 0
	v_mad_u64_u32 v[15:16], null, 0xcd9e8d57, v0, 0
	s_delay_alu instid0(VALU_DEP_2) | instskip(NEXT) | instid1(VALU_DEP_2)
	v_xor3_b32 v0, v21, v4, v2
	v_xor3_b32 v2, v22, v16, v14
	s_delay_alu instid0(VALU_DEP_2) | instskip(NEXT) | instid1(VALU_DEP_2)
	v_mad_u64_u32 v[16:17], null, 0xcd9e8d57, v0, 0
	v_mad_u64_u32 v[47:48], null, 0xd2511f53, v2, 0
	s_delay_alu instid0(VALU_DEP_2) | instskip(NEXT) | instid1(VALU_DEP_2)
	v_xor3_b32 v0, v25, v17, v15
	v_xor3_b32 v4, v26, v48, v3
	;; [unrolled: 6-line block ×9, first 2 shown]
	s_delay_alu instid0(VALU_DEP_2)
	v_mov_b32_e32 v4, v9
	v_cmpx_lt_i32_e32 1, v23
	s_xor_b32 s0, exec_lo, s0
	s_cbranch_execz .LBB8_14
; %bb.9:                                ;   in Loop: Header=BB8_8 Depth=1
	s_mov_b32 s1, exec_lo
	v_cmpx_lt_i32_e32 2, v23
	s_xor_b32 s1, exec_lo, s1
; %bb.10:                               ;   in Loop: Header=BB8_8 Depth=1
	v_dual_mov_b32 v6, v8 :: v_dual_mov_b32 v7, v2
	v_mov_b32_e32 v8, v3
	s_delay_alu instid0(VALU_DEP_2) | instskip(NEXT) | instid1(VALU_DEP_3)
	v_mov_b32_e32 v5, v6
	v_mov_b32_e32 v6, v7
	s_delay_alu instid0(VALU_DEP_3)
	v_mov_b32_e32 v7, v8
	v_mov_b32_e32 v8, v9
; %bb.11:                               ;   in Loop: Header=BB8_8 Depth=1
	s_and_not1_saveexec_b32 s1, s1
; %bb.12:                               ;   in Loop: Header=BB8_8 Depth=1
	s_delay_alu instid0(VALU_DEP_1)
	v_dual_mov_b32 v5, v7 :: v_dual_mov_b32 v6, v8
	v_dual_mov_b32 v7, v2 :: v_dual_mov_b32 v8, v3
; %bb.13:                               ;   in Loop: Header=BB8_8 Depth=1
	s_or_b32 exec_lo, exec_lo, s1
.LBB8_14:                               ;   in Loop: Header=BB8_8 Depth=1
	s_and_not1_saveexec_b32 s0, s0
	s_cbranch_execz .LBB8_18
; %bb.15:                               ;   in Loop: Header=BB8_8 Depth=1
	s_mov_b32 s1, exec_lo
	v_cmpx_eq_u32_e32 1, v23
; %bb.16:                               ;   in Loop: Header=BB8_8 Depth=1
	v_dual_mov_b32 v5, v6 :: v_dual_mov_b32 v6, v7
	v_dual_mov_b32 v7, v8 :: v_dual_mov_b32 v8, v2
; %bb.17:                               ;   in Loop: Header=BB8_8 Depth=1
	s_or_b32 exec_lo, exec_lo, s1
.LBB8_18:                               ;   in Loop: Header=BB8_8 Depth=1
	s_delay_alu instid0(SALU_CYCLE_1) | instskip(NEXT) | instid1(VALU_DEP_2)
	s_or_b32 exec_lo, exec_lo, s0
	v_mov_b32_e32 v0, v6
	s_mov_b32 s61, s13
	s_delay_alu instid0(VALU_DEP_1) | instskip(NEXT) | instid1(VALU_DEP_1)
	v_lshlrev_b64 v[15:16], 21, v[0:1]
	v_cvt_f64_u32_e32 v[16:17], v16
	s_delay_alu instid0(VALU_DEP_2) | instskip(NEXT) | instid1(VALU_DEP_1)
	v_xor_b32_e32 v0, v15, v5
	v_cvt_f64_u32_e32 v[5:6], v0
	s_delay_alu instid0(VALU_DEP_3) | instskip(SKIP_1) | instid1(VALU_DEP_2)
	v_ldexp_f64 v[15:16], v[16:17], 32
	v_mov_b32_e32 v17, v1
	v_add_f64 v[5:6], v[15:16], v[5:6]
	s_delay_alu instid0(VALU_DEP_1) | instskip(NEXT) | instid1(VALU_DEP_1)
	v_fma_f64 v[15:16], 0x3ca00000, v[5:6], 0x3ca00000
	v_frexp_mant_f64_e32 v[5:6], v[15:16]
	v_frexp_exp_i32_f64_e32 v0, v[15:16]
	v_cmp_eq_f64_e64 s0, 0x7ff00000, v[15:16]
	s_delay_alu instid0(VALU_DEP_3) | instskip(SKIP_1) | instid1(VALU_DEP_4)
	v_cmp_gt_f64_e32 vcc_lo, s[12:13], v[5:6]
	v_cndmask_b32_e64 v18, 0x3ff00000, 2.0, vcc_lo
	v_subrev_co_ci_u32_e32 v0, vcc_lo, 0, v0, vcc_lo
	s_delay_alu instid0(VALU_DEP_2) | instskip(NEXT) | instid1(VALU_DEP_1)
	v_mul_f64 v[5:6], v[5:6], v[17:18]
	v_add_f64 v[17:18], v[5:6], 1.0
	v_add_f64 v[51:52], v[5:6], -1.0
	s_delay_alu instid0(VALU_DEP_2) | instskip(SKIP_1) | instid1(VALU_DEP_1)
	v_rcp_f64_e32 v[47:48], v[17:18]
	v_add_f64 v[53:54], v[17:18], -1.0
	v_add_f64 v[5:6], v[5:6], -v[53:54]
	s_waitcnt_depctr 0xfff
	v_fma_f64 v[49:50], -v[17:18], v[47:48], 1.0
	s_delay_alu instid0(VALU_DEP_1) | instskip(NEXT) | instid1(VALU_DEP_1)
	v_fma_f64 v[47:48], v[49:50], v[47:48], v[47:48]
	v_fma_f64 v[49:50], -v[17:18], v[47:48], 1.0
	s_delay_alu instid0(VALU_DEP_1) | instskip(NEXT) | instid1(VALU_DEP_1)
	v_fma_f64 v[47:48], v[49:50], v[47:48], v[47:48]
	v_mul_f64 v[49:50], v[51:52], v[47:48]
	s_delay_alu instid0(VALU_DEP_1) | instskip(NEXT) | instid1(VALU_DEP_1)
	v_mul_f64 v[55:56], v[17:18], v[49:50]
	v_fma_f64 v[17:18], v[49:50], v[17:18], -v[55:56]
	s_delay_alu instid0(VALU_DEP_1) | instskip(NEXT) | instid1(VALU_DEP_1)
	v_fma_f64 v[5:6], v[49:50], v[5:6], v[17:18]
	v_add_f64 v[17:18], v[55:56], v[5:6]
	s_delay_alu instid0(VALU_DEP_1) | instskip(SKIP_1) | instid1(VALU_DEP_2)
	v_add_f64 v[53:54], v[51:52], -v[17:18]
	v_add_f64 v[55:56], v[17:18], -v[55:56]
	;; [unrolled: 1-line block ×3, first 2 shown]
	s_delay_alu instid0(VALU_DEP_2) | instskip(NEXT) | instid1(VALU_DEP_2)
	v_add_f64 v[5:6], v[55:56], -v[5:6]
	v_add_f64 v[17:18], v[51:52], -v[17:18]
	s_delay_alu instid0(VALU_DEP_1) | instskip(NEXT) | instid1(VALU_DEP_1)
	v_add_f64 v[5:6], v[5:6], v[17:18]
	v_add_f64 v[5:6], v[53:54], v[5:6]
	s_delay_alu instid0(VALU_DEP_1) | instskip(NEXT) | instid1(VALU_DEP_1)
	v_mul_f64 v[5:6], v[47:48], v[5:6]
	v_add_f64 v[17:18], v[49:50], v[5:6]
	s_delay_alu instid0(VALU_DEP_1) | instskip(NEXT) | instid1(VALU_DEP_1)
	v_mul_f64 v[47:48], v[17:18], v[17:18]
	v_fma_f64 v[51:52], v[47:48], s[16:17], s[14:15]
	v_mul_f64 v[53:54], v[17:18], v[47:48]
	s_delay_alu instid0(VALU_DEP_2) | instskip(NEXT) | instid1(VALU_DEP_1)
	v_fma_f64 v[51:52], v[47:48], v[51:52], s[18:19]
	v_fma_f64 v[51:52], v[47:48], v[51:52], s[20:21]
	s_delay_alu instid0(VALU_DEP_1) | instskip(NEXT) | instid1(VALU_DEP_1)
	v_fma_f64 v[51:52], v[47:48], v[51:52], s[22:23]
	v_fma_f64 v[51:52], v[47:48], v[51:52], s[24:25]
	s_delay_alu instid0(VALU_DEP_1) | instskip(SKIP_3) | instid1(VALU_DEP_3)
	v_fma_f64 v[47:48], v[47:48], v[51:52], s[60:61]
	v_ldexp_f64 v[51:52], v[17:18], 1
	v_add_f64 v[17:18], v[17:18], -v[49:50]
	s_mov_b32 s61, exec_lo
	v_mul_f64 v[47:48], v[53:54], v[47:48]
	v_cvt_f64_i32_e32 v[53:54], v0
	s_delay_alu instid0(VALU_DEP_3) | instskip(SKIP_1) | instid1(VALU_DEP_1)
	v_add_f64 v[5:6], v[5:6], -v[17:18]
	v_mov_b32_e32 v0, v8
	v_lshlrev_b64 v[8:9], 21, v[0:1]
	s_delay_alu instid0(VALU_DEP_1) | instskip(NEXT) | instid1(VALU_DEP_1)
	v_xor_b32_e32 v0, v8, v7
	v_cvt_f64_u32_e32 v[7:8], v0
	v_add_f64 v[49:50], v[51:52], v[47:48]
	v_mul_f64 v[55:56], v[53:54], s[26:27]
	v_ldexp_f64 v[5:6], v[5:6], 1
	s_delay_alu instid0(VALU_DEP_3) | instskip(NEXT) | instid1(VALU_DEP_3)
	v_add_f64 v[17:18], v[49:50], -v[51:52]
	v_fma_f64 v[51:52], v[53:54], s[26:27], -v[55:56]
	s_delay_alu instid0(VALU_DEP_2) | instskip(NEXT) | instid1(VALU_DEP_2)
	v_add_f64 v[17:18], v[47:48], -v[17:18]
	v_fma_f64 v[47:48], v[53:54], s[28:29], v[51:52]
	s_delay_alu instid0(VALU_DEP_2) | instskip(NEXT) | instid1(VALU_DEP_2)
	v_add_f64 v[5:6], v[5:6], v[17:18]
	v_add_f64 v[17:18], v[55:56], v[47:48]
	s_delay_alu instid0(VALU_DEP_2) | instskip(NEXT) | instid1(VALU_DEP_2)
	v_add_f64 v[51:52], v[49:50], v[5:6]
	v_add_f64 v[55:56], v[17:18], -v[55:56]
	s_delay_alu instid0(VALU_DEP_2) | instskip(SKIP_1) | instid1(VALU_DEP_3)
	v_add_f64 v[53:54], v[17:18], v[51:52]
	v_add_f64 v[49:50], v[51:52], -v[49:50]
	v_add_f64 v[47:48], v[47:48], -v[55:56]
	s_delay_alu instid0(VALU_DEP_3) | instskip(NEXT) | instid1(VALU_DEP_3)
	v_add_f64 v[57:58], v[53:54], -v[17:18]
	v_add_f64 v[49:50], v[5:6], -v[49:50]
	s_delay_alu instid0(VALU_DEP_2) | instskip(SKIP_2) | instid1(VALU_DEP_4)
	v_add_f64 v[59:60], v[53:54], -v[57:58]
	v_add_f64 v[5:6], v[51:52], -v[57:58]
	v_cvt_f64_u32_e32 v[51:52], v9
	v_add_f64 v[55:56], v[47:48], v[49:50]
	s_delay_alu instid0(VALU_DEP_4) | instskip(NEXT) | instid1(VALU_DEP_1)
	v_add_f64 v[17:18], v[17:18], -v[59:60]
	v_add_f64 v[5:6], v[5:6], v[17:18]
	s_delay_alu instid0(VALU_DEP_4) | instskip(NEXT) | instid1(VALU_DEP_4)
	v_ldexp_f64 v[17:18], v[51:52], 32
	v_add_f64 v[51:52], v[55:56], -v[47:48]
	s_delay_alu instid0(VALU_DEP_3) | instskip(NEXT) | instid1(VALU_DEP_3)
	v_add_f64 v[57:58], v[55:56], v[5:6]
	v_add_f64 v[5:6], v[17:18], v[7:8]
	s_delay_alu instid0(VALU_DEP_3) | instskip(SKIP_1) | instid1(VALU_DEP_4)
	v_add_f64 v[7:8], v[55:56], -v[51:52]
	v_add_f64 v[49:50], v[49:50], -v[51:52]
	v_add_f64 v[17:18], v[53:54], v[57:58]
	s_delay_alu instid0(VALU_DEP_4) | instskip(NEXT) | instid1(VALU_DEP_4)
	v_fma_f64 v[5:6], 0x3cb00000, v[5:6], 0x3cb00000
	v_add_f64 v[7:8], v[47:48], -v[7:8]
	s_delay_alu instid0(VALU_DEP_3) | instskip(NEXT) | instid1(VALU_DEP_3)
	v_add_f64 v[47:48], v[17:18], -v[53:54]
	v_mul_f64 v[51:52], v[5:6], 0.5
	s_delay_alu instid0(VALU_DEP_3) | instskip(NEXT) | instid1(VALU_DEP_3)
	v_add_f64 v[7:8], v[49:50], v[7:8]
	v_add_f64 v[47:48], v[57:58], -v[47:48]
	s_delay_alu instid0(VALU_DEP_3) | instskip(SKIP_1) | instid1(VALU_DEP_3)
	v_fract_f64_e32 v[49:50], v[51:52]
	v_cmp_neq_f64_e32 vcc_lo, 0x7ff00000, v[51:52]
	v_add_f64 v[7:8], v[7:8], v[47:48]
	s_delay_alu instid0(VALU_DEP_3) | instskip(NEXT) | instid1(VALU_DEP_2)
	v_add_f64 v[47:48], v[49:50], v[49:50]
	v_add_f64 v[7:8], v[17:18], v[7:8]
	s_delay_alu instid0(VALU_DEP_2) | instskip(SKIP_1) | instid1(VALU_DEP_3)
	v_dual_cndmask_b32 v9, 0, v48 :: v_dual_cndmask_b32 v0, 0, v47
	v_cmp_lt_f64_e32 vcc_lo, 1.0, v[5:6]
	v_cndmask_b32_e64 v8, v8, v16, s0
	s_delay_alu instid0(VALU_DEP_4) | instskip(SKIP_2) | instid1(VALU_DEP_3)
	v_cndmask_b32_e64 v7, v7, v15, s0
	v_cmp_neq_f64_e64 s0, 0, v[15:16]
	v_dual_cndmask_b32 v16, v6, v9 :: v_dual_cndmask_b32 v15, v5, v0
	v_mul_f64 v[7:8], v[7:8], -2.0
	s_delay_alu instid0(VALU_DEP_2) | instskip(NEXT) | instid1(VALU_DEP_2)
	v_add_f64 v[17:18], v[15:16], v[15:16]
	v_cndmask_b32_e64 v8, 0x7ff00000, v8, s0
	s_delay_alu instid0(VALU_DEP_3) | instskip(NEXT) | instid1(VALU_DEP_3)
	v_cndmask_b32_e64 v7, 0, v7, s0
	v_rndne_f64_e32 v[17:18], v[17:18]
	s_delay_alu instid0(VALU_DEP_2) | instskip(NEXT) | instid1(VALU_DEP_2)
	v_cmp_gt_f64_e32 vcc_lo, 0x10000000, v[7:8]
	v_fma_f64 v[15:16], v[17:18], -0.5, v[15:16]
	v_cvt_i32_f64_e32 v9, v[17:18]
	v_cndmask_b32_e64 v0, 0, 1, vcc_lo
	s_delay_alu instid0(VALU_DEP_1) | instskip(NEXT) | instid1(VALU_DEP_1)
	v_lshlrev_b32_e32 v0, 8, v0
	v_ldexp_f64 v[7:8], v[7:8], v0
	v_cndmask_b32_e64 v0, 0, 0xffffff80, vcc_lo
	v_cmp_lg_f64_e32 vcc_lo, 0x7ff00000, v[5:6]
	v_mul_f64 v[51:52], v[15:16], v[15:16]
	v_and_b32_e32 v5, 1, v9
	v_rsq_f64_e32 v[47:48], v[7:8]
	v_cmp_class_f64_e64 s0, v[7:8], 0x260
	s_delay_alu instid0(VALU_DEP_3)
	v_fma_f64 v[55:56], v[51:52], s[34:35], s[30:31]
	v_fma_f64 v[57:58], v[51:52], s[48:49], s[46:47]
	v_mul_f64 v[59:60], v[15:16], v[51:52]
	s_waitcnt_depctr 0xfff
	v_mul_f64 v[49:50], v[7:8], v[47:48]
	v_mul_f64 v[47:48], v[47:48], 0.5
	v_fma_f64 v[55:56], v[51:52], v[55:56], s[36:37]
	v_fma_f64 v[57:58], v[51:52], v[57:58], s[50:51]
	s_delay_alu instid0(VALU_DEP_3) | instskip(NEXT) | instid1(VALU_DEP_3)
	v_fma_f64 v[53:54], -v[47:48], v[49:50], 0.5
	v_fma_f64 v[55:56], v[51:52], v[55:56], s[38:39]
	s_delay_alu instid0(VALU_DEP_3) | instskip(NEXT) | instid1(VALU_DEP_3)
	v_fma_f64 v[57:58], v[51:52], v[57:58], s[52:53]
	v_fma_f64 v[49:50], v[49:50], v[53:54], v[49:50]
	;; [unrolled: 1-line block ×3, first 2 shown]
	s_delay_alu instid0(VALU_DEP_2) | instskip(NEXT) | instid1(VALU_DEP_1)
	v_fma_f64 v[53:54], -v[49:50], v[49:50], v[7:8]
	v_fma_f64 v[49:50], v[53:54], v[47:48], v[49:50]
	v_fma_f64 v[53:54], v[51:52], v[55:56], s[40:41]
	;; [unrolled: 1-line block ×3, first 2 shown]
	s_delay_alu instid0(VALU_DEP_3) | instskip(NEXT) | instid1(VALU_DEP_3)
	v_fma_f64 v[57:58], -v[49:50], v[49:50], v[7:8]
	v_fma_f64 v[53:54], v[51:52], v[53:54], s[42:43]
	s_delay_alu instid0(VALU_DEP_3) | instskip(NEXT) | instid1(VALU_DEP_3)
	v_fma_f64 v[55:56], v[51:52], v[55:56], s[56:57]
	v_fma_f64 v[47:48], v[57:58], v[47:48], v[49:50]
	s_delay_alu instid0(VALU_DEP_3) | instskip(NEXT) | instid1(VALU_DEP_3)
	v_mul_f64 v[49:50], v[59:60], v[53:54]
	v_fma_f64 v[53:54], v[51:52], v[55:56], s[58:59]
	s_delay_alu instid0(VALU_DEP_3) | instskip(NEXT) | instid1(VALU_DEP_3)
	v_ldexp_f64 v[47:48], v[47:48], v0
	v_fma_f64 v[15:16], v[15:16], s[44:45], v[49:50]
	s_delay_alu instid0(VALU_DEP_3) | instskip(SKIP_1) | instid1(VALU_DEP_4)
	v_fma_f64 v[17:18], v[51:52], v[53:54], 1.0
	v_lshlrev_b32_e32 v0, 30, v9
	v_cndmask_b32_e64 v8, v48, v8, s0
	v_cndmask_b32_e64 v7, v47, v7, s0
	v_cmp_eq_u32_e64 s0, 0, v5
	v_cmpx_gt_i64_e64 s[4:5], v[12:13]
	s_cbranch_execz .LBB8_20
; %bb.19:                               ;   in Loop: Header=BB8_8 Depth=1
	v_xor_b32_e32 v5, v0, v6
	s_delay_alu instid0(VALU_DEP_3) | instskip(SKIP_1) | instid1(VALU_DEP_3)
	v_cndmask_b32_e64 v6, v18, v16, s0
	v_cndmask_b32_e64 v9, v17, v15, s0
	v_and_b32_e32 v5, 0x80000000, v5
	s_delay_alu instid0(VALU_DEP_1) | instskip(NEXT) | instid1(VALU_DEP_3)
	v_xor_b32_e32 v6, v6, v5
	v_cndmask_b32_e32 v5, 0, v9, vcc_lo
	s_delay_alu instid0(VALU_DEP_2) | instskip(NEXT) | instid1(VALU_DEP_1)
	v_cndmask_b32_e32 v6, 0x7ff80000, v6, vcc_lo
	v_mul_f64 v[5:6], v[7:8], v[5:6]
	s_delay_alu instid0(VALU_DEP_1) | instskip(NEXT) | instid1(VALU_DEP_1)
	v_cvt_f32_f64_e32 v5, v[5:6]
	v_fma_f32 v5, s10, v5, s9
	s_delay_alu instid0(VALU_DEP_1) | instskip(SKIP_1) | instid1(VALU_DEP_2)
	v_mul_f32_e32 v6, 0x3fb8aa3b, v5
	v_cmp_ngt_f32_e64 s1, 0xc2ce8ed0, v5
	v_fma_f32 v9, 0x3fb8aa3b, v5, -v6
	v_rndne_f32_e32 v47, v6
	s_delay_alu instid0(VALU_DEP_1) | instskip(NEXT) | instid1(VALU_DEP_1)
	v_dual_fmac_f32 v9, 0x32a5705f, v5 :: v_dual_sub_f32 v6, v6, v47
	v_add_f32_e32 v6, v6, v9
	v_cvt_i32_f32_e32 v9, v47
	s_delay_alu instid0(VALU_DEP_2) | instskip(SKIP_3) | instid1(VALU_DEP_2)
	v_exp_f32_e32 v6, v6
	s_waitcnt_depctr 0xfff
	v_ldexp_f32 v6, v6, v9
	v_add_nc_u32_e32 v9, s65, v40
	v_cndmask_b32_e64 v6, 0, v6, s1
	v_cmp_nlt_f32_e64 s1, 0x42b17218, v5
	s_delay_alu instid0(VALU_DEP_3) | instskip(NEXT) | instid1(VALU_DEP_2)
	v_ashrrev_i32_e32 v47, 31, v9
	v_cndmask_b32_e64 v48, 0x7f800000, v6, s1
	v_add_co_u32 v5, s1, s6, v9
	s_delay_alu instid0(VALU_DEP_1) | instskip(NEXT) | instid1(VALU_DEP_3)
	v_add_co_ci_u32_e64 v6, s1, s7, v47, s1
	v_cvt_f16_f32_e32 v9, v48
	global_store_b16 v[5:6], v9, off
.LBB8_20:                               ;   in Loop: Header=BB8_8 Depth=1
	s_or_b32 exec_lo, exec_lo, s61
	v_add_co_u32 v5, s1, s33, v12
	s_delay_alu instid0(VALU_DEP_1) | instskip(SKIP_1) | instid1(VALU_DEP_1)
	v_add_co_ci_u32_e64 v6, s1, 0, v13, s1
	s_mov_b32 s61, exec_lo
	v_cmpx_gt_i64_e64 s[4:5], v[5:6]
	s_cbranch_execz .LBB8_22
; %bb.21:                               ;   in Loop: Header=BB8_8 Depth=1
	v_xor_b32_e32 v5, 0x80000000, v16
	v_cndmask_b32_e64 v6, v15, v17, s0
	v_and_b32_e32 v0, 0x80000000, v0
	s_delay_alu instid0(VALU_DEP_3) | instskip(NEXT) | instid1(VALU_DEP_1)
	v_cndmask_b32_e64 v5, v5, v18, s0
	v_xor_b32_e32 v0, v5, v0
	s_delay_alu instid0(VALU_DEP_4) | instskip(NEXT) | instid1(VALU_DEP_2)
	v_cndmask_b32_e32 v5, 0, v6, vcc_lo
	v_cndmask_b32_e32 v6, 0x7ff80000, v0, vcc_lo
	s_delay_alu instid0(VALU_DEP_1) | instskip(NEXT) | instid1(VALU_DEP_1)
	v_mul_f64 v[5:6], v[7:8], v[5:6]
	v_cvt_f32_f64_e32 v0, v[5:6]
	s_delay_alu instid0(VALU_DEP_1) | instskip(NEXT) | instid1(VALU_DEP_1)
	v_fma_f32 v0, s10, v0, s9
	v_mul_f32_e32 v5, 0x3fb8aa3b, v0
	v_cmp_ngt_f32_e32 vcc_lo, 0xc2ce8ed0, v0
	s_delay_alu instid0(VALU_DEP_2) | instskip(SKIP_1) | instid1(VALU_DEP_1)
	v_fma_f32 v6, 0x3fb8aa3b, v0, -v5
	v_rndne_f32_e32 v7, v5
	v_dual_fmac_f32 v6, 0x32a5705f, v0 :: v_dual_sub_f32 v5, v5, v7
	s_delay_alu instid0(VALU_DEP_1) | instskip(SKIP_1) | instid1(VALU_DEP_2)
	v_add_f32_e32 v5, v5, v6
	v_cvt_i32_f32_e32 v6, v7
	v_exp_f32_e32 v5, v5
	s_waitcnt_depctr 0xfff
	v_ldexp_f32 v5, v5, v6
	s_delay_alu instid0(VALU_DEP_1) | instskip(SKIP_1) | instid1(VALU_DEP_2)
	v_dual_cndmask_b32 v5, 0, v5 :: v_dual_add_nc_u32 v6, s65, v43
	v_cmp_nlt_f32_e32 vcc_lo, 0x42b17218, v0
	v_ashrrev_i32_e32 v7, 31, v6
	s_delay_alu instid0(VALU_DEP_3) | instskip(SKIP_1) | instid1(VALU_DEP_3)
	v_cndmask_b32_e32 v0, 0x7f800000, v5, vcc_lo
	v_add_co_u32 v5, vcc_lo, s6, v6
	v_add_co_ci_u32_e32 v6, vcc_lo, s7, v7, vcc_lo
	s_delay_alu instid0(VALU_DEP_3)
	v_cvt_f16_f32_e32 v0, v0
	global_store_b16 v[5:6], v0, off
.LBB8_22:                               ;   in Loop: Header=BB8_8 Depth=1
	s_or_b32 exec_lo, exec_lo, s61
	v_add_co_u32 v5, vcc_lo, s63, v12
	v_add_co_ci_u32_e32 v6, vcc_lo, 0, v13, vcc_lo
	s_mov_b32 s0, exec_lo
	s_delay_alu instid0(VALU_DEP_1)
	v_cmpx_gt_i64_e64 s[4:5], v[5:6]
	s_cbranch_execz .LBB8_24
; %bb.23:                               ;   in Loop: Header=BB8_8 Depth=1
	v_add_nc_u32_e32 v0, s65, v42
	s_delay_alu instid0(VALU_DEP_1) | instskip(SKIP_1) | instid1(VALU_DEP_2)
	v_ashrrev_i32_e32 v6, 31, v0
	v_add_co_u32 v5, vcc_lo, s6, v0
	v_add_co_ci_u32_e32 v6, vcc_lo, s7, v6, vcc_lo
	global_store_b16 v[5:6], v44, off
.LBB8_24:                               ;   in Loop: Header=BB8_8 Depth=1
	s_or_b32 exec_lo, exec_lo, s0
	v_add_co_u32 v5, vcc_lo, s64, v12
	v_add_co_ci_u32_e32 v6, vcc_lo, 0, v13, vcc_lo
	s_mov_b32 s0, exec_lo
	s_delay_alu instid0(VALU_DEP_1)
	v_cmpx_gt_i64_e64 s[4:5], v[5:6]
	s_cbranch_execz .LBB8_7
; %bb.25:                               ;   in Loop: Header=BB8_8 Depth=1
	v_add_nc_u32_e32 v0, s65, v41
	s_delay_alu instid0(VALU_DEP_1) | instskip(SKIP_1) | instid1(VALU_DEP_2)
	v_ashrrev_i32_e32 v6, 31, v0
	v_add_co_u32 v5, vcc_lo, s6, v0
	v_add_co_ci_u32_e32 v6, vcc_lo, s7, v6, vcc_lo
	global_store_b16 v[5:6], v44, off
	s_branch .LBB8_7
.LBB8_26:
	s_endpgm
.LBB8_27:
                                        ; implicit-def: $sgpr2_sgpr3
	s_branch .LBB8_4
	.section	.rodata,"a",@progbits
	.p2align	6, 0x0
	.amdhsa_kernel _ZN2at6native12_GLOBAL__N_143distribution_elementwise_grid_stride_kernelIfLi4EZNS0_9templates4cuda20normal_and_transformIN3c104HalfEfPNS_17CUDAGeneratorImplEZZZNS4_17log_normal_kernelIS9_EEvRNS_18TensorIteratorBaseEddT_ENKUlvE_clEvENKUlvE1_clEvEUlfE_EEvSC_T1_T2_EUlP25hiprandStatePhilox4_32_10E_ZNS1_27distribution_nullary_kernelIS7_f15HIP_vector_typeIdLj2EES9_SL_SG_EEvSC_SI_RKT3_T4_EUlifE_EEvlNS_15PhiloxCudaStateESH_SI_
		.amdhsa_group_segment_fixed_size 0
		.amdhsa_private_segment_fixed_size 0
		.amdhsa_kernarg_size 328
		.amdhsa_user_sgpr_count 15
		.amdhsa_user_sgpr_dispatch_ptr 0
		.amdhsa_user_sgpr_queue_ptr 0
		.amdhsa_user_sgpr_kernarg_segment_ptr 1
		.amdhsa_user_sgpr_dispatch_id 0
		.amdhsa_user_sgpr_private_segment_size 0
		.amdhsa_wavefront_size32 1
		.amdhsa_uses_dynamic_stack 0
		.amdhsa_enable_private_segment 0
		.amdhsa_system_sgpr_workgroup_id_x 1
		.amdhsa_system_sgpr_workgroup_id_y 0
		.amdhsa_system_sgpr_workgroup_id_z 0
		.amdhsa_system_sgpr_workgroup_info 0
		.amdhsa_system_vgpr_workitem_id 0
		.amdhsa_next_free_vgpr 61
		.amdhsa_next_free_sgpr 66
		.amdhsa_reserve_vcc 1
		.amdhsa_float_round_mode_32 0
		.amdhsa_float_round_mode_16_64 0
		.amdhsa_float_denorm_mode_32 3
		.amdhsa_float_denorm_mode_16_64 3
		.amdhsa_dx10_clamp 1
		.amdhsa_ieee_mode 1
		.amdhsa_fp16_overflow 0
		.amdhsa_workgroup_processor_mode 1
		.amdhsa_memory_ordered 1
		.amdhsa_forward_progress 0
		.amdhsa_shared_vgpr_count 0
		.amdhsa_exception_fp_ieee_invalid_op 0
		.amdhsa_exception_fp_denorm_src 0
		.amdhsa_exception_fp_ieee_div_zero 0
		.amdhsa_exception_fp_ieee_overflow 0
		.amdhsa_exception_fp_ieee_underflow 0
		.amdhsa_exception_fp_ieee_inexact 0
		.amdhsa_exception_int_div_zero 0
	.end_amdhsa_kernel
	.section	.text._ZN2at6native12_GLOBAL__N_143distribution_elementwise_grid_stride_kernelIfLi4EZNS0_9templates4cuda20normal_and_transformIN3c104HalfEfPNS_17CUDAGeneratorImplEZZZNS4_17log_normal_kernelIS9_EEvRNS_18TensorIteratorBaseEddT_ENKUlvE_clEvENKUlvE1_clEvEUlfE_EEvSC_T1_T2_EUlP25hiprandStatePhilox4_32_10E_ZNS1_27distribution_nullary_kernelIS7_f15HIP_vector_typeIdLj2EES9_SL_SG_EEvSC_SI_RKT3_T4_EUlifE_EEvlNS_15PhiloxCudaStateESH_SI_,"axG",@progbits,_ZN2at6native12_GLOBAL__N_143distribution_elementwise_grid_stride_kernelIfLi4EZNS0_9templates4cuda20normal_and_transformIN3c104HalfEfPNS_17CUDAGeneratorImplEZZZNS4_17log_normal_kernelIS9_EEvRNS_18TensorIteratorBaseEddT_ENKUlvE_clEvENKUlvE1_clEvEUlfE_EEvSC_T1_T2_EUlP25hiprandStatePhilox4_32_10E_ZNS1_27distribution_nullary_kernelIS7_f15HIP_vector_typeIdLj2EES9_SL_SG_EEvSC_SI_RKT3_T4_EUlifE_EEvlNS_15PhiloxCudaStateESH_SI_,comdat
.Lfunc_end8:
	.size	_ZN2at6native12_GLOBAL__N_143distribution_elementwise_grid_stride_kernelIfLi4EZNS0_9templates4cuda20normal_and_transformIN3c104HalfEfPNS_17CUDAGeneratorImplEZZZNS4_17log_normal_kernelIS9_EEvRNS_18TensorIteratorBaseEddT_ENKUlvE_clEvENKUlvE1_clEvEUlfE_EEvSC_T1_T2_EUlP25hiprandStatePhilox4_32_10E_ZNS1_27distribution_nullary_kernelIS7_f15HIP_vector_typeIdLj2EES9_SL_SG_EEvSC_SI_RKT3_T4_EUlifE_EEvlNS_15PhiloxCudaStateESH_SI_, .Lfunc_end8-_ZN2at6native12_GLOBAL__N_143distribution_elementwise_grid_stride_kernelIfLi4EZNS0_9templates4cuda20normal_and_transformIN3c104HalfEfPNS_17CUDAGeneratorImplEZZZNS4_17log_normal_kernelIS9_EEvRNS_18TensorIteratorBaseEddT_ENKUlvE_clEvENKUlvE1_clEvEUlfE_EEvSC_T1_T2_EUlP25hiprandStatePhilox4_32_10E_ZNS1_27distribution_nullary_kernelIS7_f15HIP_vector_typeIdLj2EES9_SL_SG_EEvSC_SI_RKT3_T4_EUlifE_EEvlNS_15PhiloxCudaStateESH_SI_
                                        ; -- End function
	.section	.AMDGPU.csdata,"",@progbits
; Kernel info:
; codeLenInByte = 4960
; NumSgprs: 68
; NumVgprs: 61
; ScratchSize: 0
; MemoryBound: 0
; FloatMode: 240
; IeeeMode: 1
; LDSByteSize: 0 bytes/workgroup (compile time only)
; SGPRBlocks: 8
; VGPRBlocks: 7
; NumSGPRsForWavesPerEU: 68
; NumVGPRsForWavesPerEU: 61
; Occupancy: 16
; WaveLimiterHint : 0
; COMPUTE_PGM_RSRC2:SCRATCH_EN: 0
; COMPUTE_PGM_RSRC2:USER_SGPR: 15
; COMPUTE_PGM_RSRC2:TRAP_HANDLER: 0
; COMPUTE_PGM_RSRC2:TGID_X_EN: 1
; COMPUTE_PGM_RSRC2:TGID_Y_EN: 0
; COMPUTE_PGM_RSRC2:TGID_Z_EN: 0
; COMPUTE_PGM_RSRC2:TIDIG_COMP_CNT: 0
	.section	.text._ZN2at6native12_GLOBAL__N_143distribution_elementwise_grid_stride_kernelIfLi4EZNS0_9templates4cuda20normal_and_transformIN3c104HalfEfPNS_17CUDAGeneratorImplEZZZNS4_17log_normal_kernelIS9_EEvRNS_18TensorIteratorBaseEddT_ENKUlvE_clEvENKUlvE1_clEvEUlfE_EEvSC_T1_T2_EUlP25hiprandStatePhilox4_32_10E_ZNS1_27distribution_nullary_kernelIS7_f15HIP_vector_typeIdLj2EES9_SL_SG_EEvSC_SI_RKT3_T4_EUlifE0_EEvlNS_15PhiloxCudaStateESH_SI_,"axG",@progbits,_ZN2at6native12_GLOBAL__N_143distribution_elementwise_grid_stride_kernelIfLi4EZNS0_9templates4cuda20normal_and_transformIN3c104HalfEfPNS_17CUDAGeneratorImplEZZZNS4_17log_normal_kernelIS9_EEvRNS_18TensorIteratorBaseEddT_ENKUlvE_clEvENKUlvE1_clEvEUlfE_EEvSC_T1_T2_EUlP25hiprandStatePhilox4_32_10E_ZNS1_27distribution_nullary_kernelIS7_f15HIP_vector_typeIdLj2EES9_SL_SG_EEvSC_SI_RKT3_T4_EUlifE0_EEvlNS_15PhiloxCudaStateESH_SI_,comdat
	.globl	_ZN2at6native12_GLOBAL__N_143distribution_elementwise_grid_stride_kernelIfLi4EZNS0_9templates4cuda20normal_and_transformIN3c104HalfEfPNS_17CUDAGeneratorImplEZZZNS4_17log_normal_kernelIS9_EEvRNS_18TensorIteratorBaseEddT_ENKUlvE_clEvENKUlvE1_clEvEUlfE_EEvSC_T1_T2_EUlP25hiprandStatePhilox4_32_10E_ZNS1_27distribution_nullary_kernelIS7_f15HIP_vector_typeIdLj2EES9_SL_SG_EEvSC_SI_RKT3_T4_EUlifE0_EEvlNS_15PhiloxCudaStateESH_SI_ ; -- Begin function _ZN2at6native12_GLOBAL__N_143distribution_elementwise_grid_stride_kernelIfLi4EZNS0_9templates4cuda20normal_and_transformIN3c104HalfEfPNS_17CUDAGeneratorImplEZZZNS4_17log_normal_kernelIS9_EEvRNS_18TensorIteratorBaseEddT_ENKUlvE_clEvENKUlvE1_clEvEUlfE_EEvSC_T1_T2_EUlP25hiprandStatePhilox4_32_10E_ZNS1_27distribution_nullary_kernelIS7_f15HIP_vector_typeIdLj2EES9_SL_SG_EEvSC_SI_RKT3_T4_EUlifE0_EEvlNS_15PhiloxCudaStateESH_SI_
	.p2align	8
	.type	_ZN2at6native12_GLOBAL__N_143distribution_elementwise_grid_stride_kernelIfLi4EZNS0_9templates4cuda20normal_and_transformIN3c104HalfEfPNS_17CUDAGeneratorImplEZZZNS4_17log_normal_kernelIS9_EEvRNS_18TensorIteratorBaseEddT_ENKUlvE_clEvENKUlvE1_clEvEUlfE_EEvSC_T1_T2_EUlP25hiprandStatePhilox4_32_10E_ZNS1_27distribution_nullary_kernelIS7_f15HIP_vector_typeIdLj2EES9_SL_SG_EEvSC_SI_RKT3_T4_EUlifE0_EEvlNS_15PhiloxCudaStateESH_SI_,@function
_ZN2at6native12_GLOBAL__N_143distribution_elementwise_grid_stride_kernelIfLi4EZNS0_9templates4cuda20normal_and_transformIN3c104HalfEfPNS_17CUDAGeneratorImplEZZZNS4_17log_normal_kernelIS9_EEvRNS_18TensorIteratorBaseEddT_ENKUlvE_clEvENKUlvE1_clEvEUlfE_EEvSC_T1_T2_EUlP25hiprandStatePhilox4_32_10E_ZNS1_27distribution_nullary_kernelIS7_f15HIP_vector_typeIdLj2EES9_SL_SG_EEvSC_SI_RKT3_T4_EUlifE0_EEvlNS_15PhiloxCudaStateESH_SI_: ; @_ZN2at6native12_GLOBAL__N_143distribution_elementwise_grid_stride_kernelIfLi4EZNS0_9templates4cuda20normal_and_transformIN3c104HalfEfPNS_17CUDAGeneratorImplEZZZNS4_17log_normal_kernelIS9_EEvRNS_18TensorIteratorBaseEddT_ENKUlvE_clEvENKUlvE1_clEvEUlfE_EEvSC_T1_T2_EUlP25hiprandStatePhilox4_32_10E_ZNS1_27distribution_nullary_kernelIS7_f15HIP_vector_typeIdLj2EES9_SL_SG_EEvSC_SI_RKT3_T4_EUlifE0_EEvlNS_15PhiloxCudaStateESH_SI_
; %bb.0:
	s_clause 0x2
	s_load_b64 s[4:5], s[0:1], 0x10
	s_load_b128 s[16:19], s[0:1], 0x0
	s_load_b32 s2, s[0:1], 0x20
	s_waitcnt lgkmcnt(0)
	v_dual_mov_b32 v2, s4 :: v_dual_mov_b32 v3, s5
	v_dual_mov_b32 v10, s18 :: v_dual_mov_b32 v11, s19
	s_bitcmp0_b32 s2, 0
	s_mov_b32 s2, 0
	s_cbranch_scc1 .LBB9_2
; %bb.1:
	v_dual_mov_b32 v1, s4 :: v_dual_mov_b32 v2, s5
	v_dual_mov_b32 v4, s18 :: v_dual_mov_b32 v5, s19
	s_load_b64 s[4:5], s[0:1], 0x18
	flat_load_b64 v[2:3], v[1:2]
	flat_load_b64 v[10:11], v[4:5]
	s_waitcnt vmcnt(1) lgkmcnt(0)
	v_add_co_u32 v2, vcc_lo, v2, s4
	v_add_co_ci_u32_e32 v3, vcc_lo, s5, v3, vcc_lo
.LBB9_2:
	s_clause 0x1
	s_load_b32 s3, s[0:1], 0x154
	s_load_b32 s4, s[0:1], 0x148
	s_waitcnt lgkmcnt(0)
	s_and_b32 s5, s3, 0xffff
	s_add_u32 s6, s16, -1
	s_mul_i32 s33, s4, s5
	s_addc_u32 s3, s17, -1
	s_lshl_b32 s78, s33, 2
	s_cmp_lg_u64 s[2:3], 0
	s_cbranch_scc0 .LBB9_79
; %bb.3:
	v_cvt_f32_ubyte0_e32 v1, 0
	v_cvt_f32_u32_e32 v4, s78
	s_sub_u32 s8, 0, s78
	s_subb_u32 s9, 0, 0
	s_delay_alu instid0(VALU_DEP_1) | instskip(NEXT) | instid1(VALU_DEP_1)
	v_fmamk_f32 v1, v1, 0x4f800000, v4
	v_rcp_f32_e32 v1, v1
	s_waitcnt_depctr 0xfff
	v_mul_f32_e32 v1, 0x5f7ffffc, v1
	s_delay_alu instid0(VALU_DEP_1) | instskip(NEXT) | instid1(VALU_DEP_1)
	v_mul_f32_e32 v4, 0x2f800000, v1
	v_trunc_f32_e32 v4, v4
	s_delay_alu instid0(VALU_DEP_1) | instskip(SKIP_1) | instid1(VALU_DEP_2)
	v_fmamk_f32 v1, v4, 0xcf800000, v1
	v_cvt_u32_f32_e32 v4, v4
	v_cvt_u32_f32_e32 v1, v1
	s_delay_alu instid0(VALU_DEP_2) | instskip(NEXT) | instid1(VALU_DEP_2)
	v_readfirstlane_b32 s2, v4
	v_readfirstlane_b32 s7, v1
	s_delay_alu instid0(VALU_DEP_2) | instskip(NEXT) | instid1(VALU_DEP_1)
	s_mul_i32 s10, s8, s2
	s_mul_hi_u32 s12, s8, s7
	s_mul_i32 s11, s9, s7
	s_add_i32 s10, s12, s10
	s_mul_i32 s13, s8, s7
	s_add_i32 s10, s10, s11
	s_mul_hi_u32 s12, s7, s13
	s_mul_hi_u32 s14, s2, s13
	s_mul_i32 s11, s2, s13
	s_mul_hi_u32 s13, s7, s10
	s_mul_i32 s7, s7, s10
	s_mul_hi_u32 s18, s2, s10
	s_add_u32 s7, s12, s7
	s_addc_u32 s12, 0, s13
	s_add_u32 s7, s7, s11
	s_mul_i32 s10, s2, s10
	s_addc_u32 s7, s12, s14
	s_addc_u32 s11, s18, 0
	s_add_u32 s7, s7, s10
	s_addc_u32 s10, 0, s11
	v_add_co_u32 v1, s7, v1, s7
	s_delay_alu instid0(VALU_DEP_1) | instskip(SKIP_1) | instid1(VALU_DEP_1)
	s_cmp_lg_u32 s7, 0
	s_addc_u32 s2, s2, s10
	v_readfirstlane_b32 s7, v1
	s_mul_i32 s10, s8, s2
	s_delay_alu instid0(VALU_DEP_1)
	s_mul_hi_u32 s11, s8, s7
	s_mul_i32 s9, s9, s7
	s_add_i32 s10, s11, s10
	s_mul_i32 s8, s8, s7
	s_add_i32 s10, s10, s9
	s_mul_hi_u32 s11, s2, s8
	s_mul_i32 s12, s2, s8
	s_mul_hi_u32 s8, s7, s8
	s_mul_hi_u32 s13, s7, s10
	s_mul_i32 s7, s7, s10
	s_mul_hi_u32 s9, s2, s10
	s_add_u32 s7, s8, s7
	s_addc_u32 s8, 0, s13
	s_add_u32 s7, s7, s12
	s_mul_i32 s10, s2, s10
	s_addc_u32 s7, s8, s11
	s_addc_u32 s8, s9, 0
	s_add_u32 s7, s7, s10
	s_addc_u32 s8, 0, s8
	v_add_co_u32 v1, s7, v1, s7
	s_delay_alu instid0(VALU_DEP_1) | instskip(SKIP_2) | instid1(VALU_DEP_1)
	s_cmp_lg_u32 s7, 0
	s_addc_u32 s7, s2, s8
	s_ashr_i32 s8, s3, 31
	v_readfirstlane_b32 s10, v1
	s_add_u32 s2, s6, s8
	s_mov_b32 s9, s8
	s_addc_u32 s3, s3, s8
	s_delay_alu instid0(SALU_CYCLE_1) | instskip(NEXT) | instid1(SALU_CYCLE_1)
	s_xor_b64 s[2:3], s[2:3], s[8:9]
	s_mul_i32 s12, s2, s7
	s_mul_hi_u32 s13, s2, s10
	s_mul_hi_u32 s11, s2, s7
	;; [unrolled: 1-line block ×3, first 2 shown]
	s_mul_i32 s10, s3, s10
	s_add_u32 s12, s13, s12
	s_addc_u32 s11, 0, s11
	s_mul_hi_u32 s14, s3, s7
	s_add_u32 s10, s12, s10
	s_mul_i32 s7, s3, s7
	s_addc_u32 s10, s11, s18
	s_addc_u32 s11, s14, 0
	s_add_u32 s7, s10, s7
	s_addc_u32 s10, 0, s11
	s_mul_i32 s12, s78, s7
	s_add_u32 s11, s7, 1
	v_sub_co_u32 v1, s2, s2, s12
	s_mul_hi_u32 s12, s78, s7
	s_addc_u32 s13, s10, 0
	s_mul_i32 s14, s78, s10
	s_delay_alu instid0(VALU_DEP_1)
	v_sub_co_u32 v4, s18, v1, s78
	s_add_u32 s19, s7, 2
	s_addc_u32 s20, s10, 0
	s_add_i32 s12, s12, s14
	s_cmp_lg_u32 s2, 0
	v_readfirstlane_b32 s2, v4
	s_subb_u32 s3, s3, s12
	s_cmp_lg_u32 s18, 0
	s_subb_u32 s12, s3, 0
	s_delay_alu instid0(VALU_DEP_1) | instskip(SKIP_4) | instid1(SALU_CYCLE_1)
	s_cmp_ge_u32 s2, s78
	s_cselect_b32 s2, -1, 0
	s_cmp_eq_u32 s12, 0
	v_readfirstlane_b32 s12, v1
	s_cselect_b32 s2, s2, -1
	s_cmp_lg_u32 s2, 0
	s_cselect_b32 s2, s19, s11
	s_cselect_b32 s11, s20, s13
	s_cmp_ge_u32 s12, s78
	s_cselect_b32 s12, -1, 0
	s_cmp_eq_u32 s3, 0
	s_cselect_b32 s3, s12, -1
	s_delay_alu instid0(SALU_CYCLE_1) | instskip(SKIP_2) | instid1(SALU_CYCLE_1)
	s_cmp_lg_u32 s3, 0
	s_cselect_b32 s3, s11, s10
	s_cselect_b32 s2, s2, s7
	s_xor_b64 s[2:3], s[2:3], s[8:9]
	s_delay_alu instid0(SALU_CYCLE_1)
	s_sub_u32 s2, s2, s8
	s_subb_u32 s3, s3, s8
	s_cbranch_execnz .LBB9_5
.LBB9_4:
	v_cvt_f32_u32_e32 v1, s78
	s_sub_i32 s3, 0, s78
	s_delay_alu instid0(VALU_DEP_1) | instskip(SKIP_2) | instid1(VALU_DEP_1)
	v_rcp_iflag_f32_e32 v1, v1
	s_waitcnt_depctr 0xfff
	v_mul_f32_e32 v1, 0x4f7ffffe, v1
	v_cvt_u32_f32_e32 v1, v1
	s_delay_alu instid0(VALU_DEP_1) | instskip(NEXT) | instid1(VALU_DEP_1)
	v_readfirstlane_b32 s2, v1
	s_mul_i32 s3, s3, s2
	s_delay_alu instid0(SALU_CYCLE_1) | instskip(NEXT) | instid1(SALU_CYCLE_1)
	s_mul_hi_u32 s3, s2, s3
	s_add_i32 s2, s2, s3
	s_delay_alu instid0(SALU_CYCLE_1) | instskip(NEXT) | instid1(SALU_CYCLE_1)
	s_mul_hi_u32 s2, s6, s2
	s_mul_i32 s3, s2, s78
	s_delay_alu instid0(SALU_CYCLE_1)
	s_sub_i32 s3, s6, s3
	s_add_i32 s6, s2, 1
	s_sub_i32 s7, s3, s78
	s_cmp_ge_u32 s3, s78
	s_cselect_b32 s2, s6, s2
	s_cselect_b32 s3, s7, s3
	s_add_i32 s6, s2, 1
	s_cmp_ge_u32 s3, s78
	s_mov_b32 s3, 0
	s_cselect_b32 s2, s6, s2
.LBB9_5:
	v_mov_b32_e32 v1, 0
	s_add_u32 s2, s2, 1
	s_addc_u32 s3, s3, 0
	s_mul_hi_u32 s6, s33, s2
	s_mul_i32 s3, s33, s3
	v_mad_u64_u32 v[12:13], null, s5, s15, v[0:1]
	s_mul_hi_u32 s4, s4, s5
	s_add_i32 s3, s6, s3
	s_mul_i32 s4, s4, s2
	s_mul_i32 s2, s33, s2
	s_add_i32 s3, s3, s4
	s_delay_alu instid0(SALU_CYCLE_1)
	s_lshl_b64 s[18:19], s[2:3], 2
	s_mov_b32 s2, exec_lo
	v_cmpx_gt_i64_e64 s[18:19], v[12:13]
	s_cbranch_execz .LBB9_78
; %bb.6:
	v_alignbit_b32 v19, v3, v2, 2
	v_mad_u64_u32 v[6:7], null, 0xcd9e8d57, v12, 0
	v_lshrrev_b32_e32 v20, 2, v3
	s_waitcnt vmcnt(0)
	v_dual_mov_b32 v14, v11 :: v_dual_and_b32 v21, 3, v2
	v_mad_u64_u32 v[4:5], null, 0xd2511f53, v19, 0
	v_add_co_u32 v25, null, 0x9e3779b9, v10
	s_delay_alu instid0(VALU_DEP_3) | instskip(SKIP_1) | instid1(VALU_DEP_4)
	v_add_co_u32 v23, null, 0xbb67ae85, v14
	v_add_co_u32 v27, null, 0x3c6ef372, v10
	v_xor_b32_e32 v0, v5, v11
	v_xor3_b32 v5, v10, v7, v20
	v_add_co_u32 v28, null, 0x76cf5d0a, v14
	v_add_co_u32 v30, null, 0xdaa66d2b, v10
	s_delay_alu instid0(VALU_DEP_4) | instskip(NEXT) | instid1(VALU_DEP_4)
	v_xor_b32_e32 v0, v0, v13
	v_mad_u64_u32 v[2:3], null, 0xd2511f53, v5, 0
	v_add_co_u32 v31, null, 0x32370b8f, v14
	s_delay_alu instid0(VALU_DEP_3) | instskip(SKIP_1) | instid1(VALU_DEP_4)
	v_mad_u64_u32 v[7:8], null, 0xcd9e8d57, v0, 0
	v_add_co_u32 v32, null, 0x78dde6e4, v10
	v_xor3_b32 v0, v23, v3, v4
	v_add_co_u32 v35, null, 0xed9eba14, v14
	v_add_co_u32 v29, null, 0x1715609d, v10
	v_xor3_b32 v8, v25, v8, v6
	s_delay_alu instid0(VALU_DEP_4) | instskip(SKIP_1) | instid1(VALU_DEP_3)
	v_mad_u64_u32 v[3:4], null, 0xcd9e8d57, v0, 0
	v_add_co_u32 v36, null, 0xa9066899, v14
	v_mad_u64_u32 v[5:6], null, 0xd2511f53, v8, 0
	v_rndne_f32_e32 v15, 0x7fc00000
	v_add_co_u32 v33, null, 0xb54cda56, v10
	v_xor3_b32 v0, v27, v4, v7
	v_add_co_u32 v38, null, 0x646e171e, v14
	v_xor3_b32 v2, v28, v6, v2
	s_load_b256 s[4:11], s[0:1], 0x30
	s_delay_alu instid0(VALU_DEP_3) | instskip(SKIP_1) | instid1(VALU_DEP_3)
	v_mad_u64_u32 v[6:7], null, 0xd2511f53, v0, 0
	v_add_co_u32 v26, null, 0x5384540f, v10
	v_mad_u64_u32 v[8:9], null, 0xcd9e8d57, v2, 0
	v_add_co_u32 v39, null, 0x1fd5c5a3, v14
	s_delay_alu instid0(VALU_DEP_4) | instskip(SKIP_3) | instid1(VALU_DEP_4)
	v_xor3_b32 v0, v31, v7, v5
	v_add_co_u32 v37, null, 0xdb3d7428, v14
	v_add_co_u32 v34, null, 0xf1bbcdc8, v10
	v_xor3_b32 v7, v30, v9, v3
	v_mad_u64_u32 v[2:3], null, 0xcd9e8d57, v0, 0
	v_mov_b32_e32 v0, 0x3fb8aa3b
	s_add_u32 s20, s0, 48
	s_delay_alu instid0(VALU_DEP_3)
	v_mad_u64_u32 v[4:5], null, 0xd2511f53, v7, 0
	s_clause 0x1
	s_load_b64 s[22:23], s[0:1], 0xf4
	s_load_b128 s[12:15], s[0:1], 0x138
	v_fmaak_f32 v0, s0, v0, 0xffc00000
	v_xor3_b32 v3, v32, v3, v8
	s_addc_u32 s21, s1, 0
	s_waitcnt lgkmcnt(0)
	s_add_i32 s2, s4, -1
	v_dual_mov_b32 v41, v12 :: v_dual_add_nc_u32 v22, 0x8ff34781, v10
	v_xor3_b32 v9, v35, v5, v6
	v_mad_u64_u32 v[5:6], null, 0xd2511f53, v3, 0
	v_fmac_f32_e64 v0, 0x32a5705f, s0
	s_cmp_gt_u32 s2, 1
	s_delay_alu instid0(VALU_DEP_3) | instskip(SKIP_2) | instid1(VALU_DEP_3)
	v_mad_u64_u32 v[7:8], null, 0xcd9e8d57, v9, 0
	s_cselect_b32 s11, -1, 0
	s_cmp_lg_u32 s4, 0
	v_xor3_b32 v4, v36, v6, v4
	v_sub_f32_e32 v6, 0x7fc00000, v15
	s_cselect_b32 s80, -1, 0
	s_add_u32 s26, s0, 0xf4
	s_delay_alu instid0(VALU_DEP_3) | instskip(SKIP_3) | instid1(VALU_DEP_3)
	v_xor3_b32 v16, v29, v8, v2
	v_mad_u64_u32 v[2:3], null, 0xcd9e8d57, v4, 0
	v_add_f32_e32 v0, v6, v0
	s_addc_u32 s27, s1, 0
	v_mad_u64_u32 v[8:9], null, 0xd2511f53, v16, 0
	s_min_u32 s0, s2, 15
	s_delay_alu instid0(VALU_DEP_2) | instskip(NEXT) | instid1(VALU_DEP_3)
	v_exp_f32_e32 v0, v0
	v_xor3_b32 v6, v33, v3, v7
	s_cmp_gt_u32 s4, 1
	v_add_nc_u32_e32 v24, 0x96a522ad, v11
	s_mov_b32 s4, s9
	s_delay_alu instid0(VALU_DEP_3) | instskip(SKIP_3) | instid1(VALU_DEP_2)
	v_xor3_b32 v7, v38, v9, v5
	v_mad_u64_u32 v[3:4], null, 0xd2511f53, v6, 0
	s_cselect_b32 s9, -1, 0
	s_add_i32 s0, s0, 1
	v_mad_u64_u32 v[5:6], null, 0xcd9e8d57, v7, 0
	v_cvt_i32_f32_e32 v7, v15
	s_lshl_b32 s81, s33, 1
	s_delay_alu instid0(VALU_DEP_3) | instskip(SKIP_3) | instid1(VALU_DEP_4)
	v_xor3_b32 v4, v39, v4, v8
	s_and_b32 s82, s0, 3
	s_cmp_lg_u32 s2, 2
	v_ldexp_f32 v0, v0, v7
	v_xor3_b32 v2, v26, v6, v2
	v_mad_u64_u32 v[14:15], null, 0xcd9e8d57, v4, 0
	s_cselect_b32 s83, -1, 0
	s_delay_alu instid0(VALU_DEP_3) | instskip(NEXT) | instid1(VALU_DEP_3)
	v_cvt_f16_f32_e32 v40, v0
	v_mad_u64_u32 v[16:17], null, 0xd2511f53, v2, 0
	s_and_b32 s84, s0, 28
	v_mov_b32_e32 v42, v13
	s_delay_alu instid0(VALU_DEP_4) | instskip(SKIP_3) | instid1(VALU_DEP_3)
	v_xor3_b32 v4, v34, v15, v5
	s_cmp_lg_u32 s82, 0
	s_mov_b32 s24, 0x55555555
	s_mov_b32 s28, 0x6b47b09a
	v_xor3_b32 v5, v37, v17, v3
	v_mad_u64_u32 v[2:3], null, 0xd2511f53, v4, 0
	s_mov_b32 s30, 0xbf559e2b
	s_mov_b32 s34, 0xd7f4df2e
	s_delay_alu instid0(VALU_DEP_2) | instskip(SKIP_2) | instid1(VALU_DEP_2)
	v_mad_u64_u32 v[6:7], null, 0xcd9e8d57, v5, 0
	s_mov_b32 s36, 0x16291751
	s_mov_b32 s38, 0x9b27acf1
	v_mov_b32_e32 v8, v2
	s_mov_b32 s40, 0x998ef7b6
	s_mov_b32 s42, 0xfefa39ef
	;; [unrolled: 1-line block ×3, first 2 shown]
	s_delay_alu instid0(VALU_DEP_2)
	v_xor3_b32 v5, v7, v14, v22
	v_xor3_b32 v7, v3, v16, v24
	s_mov_b32 s46, 0x6fdffd2b
	s_mov_b32 s48, 0xf99eb0bb
	;; [unrolled: 1-line block ×38, first 2 shown]
	s_mul_i32 s85, s33, 3
	s_cselect_b32 s86, -1, 0
	s_mov_b32 s74, 0x55555780
	s_branch .LBB9_9
.LBB9_7:                                ;   in Loop: Header=BB9_9 Depth=1
	global_store_b16 v0, v40, s[12:13]
.LBB9_8:                                ;   in Loop: Header=BB9_9 Depth=1
	s_or_b32 exec_lo, exec_lo, s75
	v_add_co_u32 v12, vcc_lo, v12, s78
	v_add_co_ci_u32_e32 v13, vcc_lo, 0, v13, vcc_lo
	v_mov_b32_e32 v5, v14
	s_waitcnt_vscnt null, 0x0
	s_barrier
	s_delay_alu instid0(VALU_DEP_2)
	v_cmp_le_i64_e32 vcc_lo, s[18:19], v[12:13]
	buffer_gl0_inv
	v_mov_b32_e32 v8, v5
	v_dual_mov_b32 v7, v4 :: v_dual_mov_b32 v6, v3
	v_mov_b32_e32 v5, v2
	s_or_b32 s79, vcc_lo, s79
	s_delay_alu instid0(SALU_CYCLE_1)
	s_and_not1_b32 exec_lo, exec_lo, s79
	s_cbranch_execz .LBB9_78
.LBB9_9:                                ; =>This Loop Header: Depth=1
                                        ;     Child Loop BB9_24 Depth 2
                                        ;     Child Loop BB9_29 Depth 2
	;; [unrolled: 1-line block ×8, first 2 shown]
	v_add_co_u32 v19, vcc_lo, v19, 1
	s_delay_alu instid0(VALU_DEP_1) | instskip(SKIP_1) | instid1(VALU_DEP_3)
	v_cndmask_b32_e64 v0, 0, 1, vcc_lo
	v_add_co_ci_u32_e32 v20, vcc_lo, 0, v20, vcc_lo
	v_mad_u64_u32 v[2:3], null, 0xd2511f53, v19, 0
	s_mov_b32 s0, exec_lo
	s_delay_alu instid0(VALU_DEP_2) | instskip(SKIP_1) | instid1(VALU_DEP_1)
	v_cmp_eq_u32_e32 vcc_lo, 0, v20
	v_cndmask_b32_e32 v0, 0, v0, vcc_lo
	v_add_nc_u32_e32 v41, v0, v41
	s_delay_alu instid0(VALU_DEP_1) | instskip(SKIP_2) | instid1(VALU_DEP_2)
	v_cmp_eq_u32_e32 vcc_lo, 0, v41
	v_cndmask_b32_e32 v0, 0, v0, vcc_lo
	v_mad_u64_u32 v[14:15], null, 0xcd9e8d57, v41, 0
	v_add_nc_u32_e32 v42, v0, v42
	v_xor_b32_e32 v0, v3, v11
	s_delay_alu instid0(VALU_DEP_3) | instskip(NEXT) | instid1(VALU_DEP_2)
	v_xor3_b32 v9, v15, v10, v20
	v_xor_b32_e32 v0, v42, v0
	s_delay_alu instid0(VALU_DEP_2) | instskip(NEXT) | instid1(VALU_DEP_2)
	v_mad_u64_u32 v[3:4], null, 0xd2511f53, v9, 0
	v_mad_u64_u32 v[15:16], null, 0xcd9e8d57, v0, 0
	s_delay_alu instid0(VALU_DEP_2) | instskip(NEXT) | instid1(VALU_DEP_2)
	v_xor3_b32 v0, v23, v4, v2
	v_xor3_b32 v2, v25, v16, v14
	s_delay_alu instid0(VALU_DEP_2) | instskip(NEXT) | instid1(VALU_DEP_2)
	v_mad_u64_u32 v[16:17], null, 0xcd9e8d57, v0, 0
	v_mad_u64_u32 v[43:44], null, 0xd2511f53, v2, 0
	s_delay_alu instid0(VALU_DEP_2) | instskip(NEXT) | instid1(VALU_DEP_2)
	v_xor3_b32 v0, v27, v17, v15
	v_xor3_b32 v4, v28, v44, v3
	;; [unrolled: 6-line block ×9, first 2 shown]
	s_delay_alu instid0(VALU_DEP_2)
	v_mov_b32_e32 v4, v9
	v_cmpx_lt_i32_e32 1, v21
	s_xor_b32 s0, exec_lo, s0
	s_cbranch_execz .LBB9_15
; %bb.10:                               ;   in Loop: Header=BB9_9 Depth=1
	s_mov_b32 s1, exec_lo
	v_cmpx_lt_i32_e32 2, v21
	s_xor_b32 s1, exec_lo, s1
; %bb.11:                               ;   in Loop: Header=BB9_9 Depth=1
	v_dual_mov_b32 v6, v8 :: v_dual_mov_b32 v7, v2
	v_mov_b32_e32 v8, v3
	s_delay_alu instid0(VALU_DEP_2) | instskip(NEXT) | instid1(VALU_DEP_3)
	v_mov_b32_e32 v5, v6
	v_mov_b32_e32 v6, v7
	s_delay_alu instid0(VALU_DEP_3)
	v_mov_b32_e32 v7, v8
	v_mov_b32_e32 v8, v9
; %bb.12:                               ;   in Loop: Header=BB9_9 Depth=1
	s_and_not1_saveexec_b32 s1, s1
; %bb.13:                               ;   in Loop: Header=BB9_9 Depth=1
	s_delay_alu instid0(VALU_DEP_1)
	v_dual_mov_b32 v5, v7 :: v_dual_mov_b32 v6, v8
	v_dual_mov_b32 v7, v2 :: v_dual_mov_b32 v8, v3
; %bb.14:                               ;   in Loop: Header=BB9_9 Depth=1
	s_or_b32 exec_lo, exec_lo, s1
.LBB9_15:                               ;   in Loop: Header=BB9_9 Depth=1
	s_and_not1_saveexec_b32 s0, s0
	s_cbranch_execz .LBB9_19
; %bb.16:                               ;   in Loop: Header=BB9_9 Depth=1
	s_mov_b32 s1, exec_lo
	v_cmpx_eq_u32_e32 1, v21
; %bb.17:                               ;   in Loop: Header=BB9_9 Depth=1
	v_dual_mov_b32 v5, v6 :: v_dual_mov_b32 v6, v7
	v_dual_mov_b32 v7, v8 :: v_dual_mov_b32 v8, v2
; %bb.18:                               ;   in Loop: Header=BB9_9 Depth=1
	s_or_b32 exec_lo, exec_lo, s1
.LBB9_19:                               ;   in Loop: Header=BB9_9 Depth=1
	s_delay_alu instid0(SALU_CYCLE_1) | instskip(NEXT) | instid1(VALU_DEP_2)
	s_or_b32 exec_lo, exec_lo, s0
	v_mov_b32_e32 v0, v6
	s_mov_b32 s75, s25
	s_delay_alu instid0(VALU_DEP_1) | instskip(NEXT) | instid1(VALU_DEP_1)
	v_lshlrev_b64 v[15:16], 21, v[0:1]
	v_cvt_f64_u32_e32 v[16:17], v16
	s_delay_alu instid0(VALU_DEP_2) | instskip(NEXT) | instid1(VALU_DEP_1)
	v_xor_b32_e32 v0, v15, v5
	v_cvt_f64_u32_e32 v[5:6], v0
	s_delay_alu instid0(VALU_DEP_3) | instskip(SKIP_1) | instid1(VALU_DEP_2)
	v_ldexp_f64 v[15:16], v[16:17], 32
	v_mov_b32_e32 v17, v1
	v_add_f64 v[5:6], v[15:16], v[5:6]
	s_delay_alu instid0(VALU_DEP_1) | instskip(NEXT) | instid1(VALU_DEP_1)
	v_fma_f64 v[5:6], 0x3ca00000, v[5:6], 0x3ca00000
	v_frexp_mant_f64_e32 v[15:16], v[5:6]
	v_frexp_exp_i32_f64_e32 v0, v[5:6]
	v_cmp_eq_f64_e64 s0, 0x7ff00000, v[5:6]
	s_delay_alu instid0(VALU_DEP_3) | instskip(SKIP_1) | instid1(VALU_DEP_4)
	v_cmp_gt_f64_e32 vcc_lo, s[24:25], v[15:16]
	v_cndmask_b32_e64 v18, 0x3ff00000, 2.0, vcc_lo
	v_subrev_co_ci_u32_e32 v0, vcc_lo, 0, v0, vcc_lo
	s_delay_alu instid0(VALU_DEP_2) | instskip(NEXT) | instid1(VALU_DEP_1)
	v_mul_f64 v[15:16], v[15:16], v[17:18]
	v_add_f64 v[17:18], v[15:16], 1.0
	v_add_f64 v[47:48], v[15:16], -1.0
	s_delay_alu instid0(VALU_DEP_2) | instskip(SKIP_1) | instid1(VALU_DEP_1)
	v_rcp_f64_e32 v[43:44], v[17:18]
	v_add_f64 v[49:50], v[17:18], -1.0
	v_add_f64 v[15:16], v[15:16], -v[49:50]
	s_waitcnt_depctr 0xfff
	v_fma_f64 v[45:46], -v[17:18], v[43:44], 1.0
	s_delay_alu instid0(VALU_DEP_1) | instskip(NEXT) | instid1(VALU_DEP_1)
	v_fma_f64 v[43:44], v[45:46], v[43:44], v[43:44]
	v_fma_f64 v[45:46], -v[17:18], v[43:44], 1.0
	s_delay_alu instid0(VALU_DEP_1) | instskip(NEXT) | instid1(VALU_DEP_1)
	v_fma_f64 v[43:44], v[45:46], v[43:44], v[43:44]
	v_mul_f64 v[45:46], v[47:48], v[43:44]
	s_delay_alu instid0(VALU_DEP_1) | instskip(NEXT) | instid1(VALU_DEP_1)
	v_mul_f64 v[51:52], v[17:18], v[45:46]
	v_fma_f64 v[17:18], v[45:46], v[17:18], -v[51:52]
	s_delay_alu instid0(VALU_DEP_1) | instskip(NEXT) | instid1(VALU_DEP_1)
	v_fma_f64 v[15:16], v[45:46], v[15:16], v[17:18]
	v_add_f64 v[17:18], v[51:52], v[15:16]
	s_delay_alu instid0(VALU_DEP_1) | instskip(SKIP_1) | instid1(VALU_DEP_2)
	v_add_f64 v[49:50], v[47:48], -v[17:18]
	v_add_f64 v[51:52], v[17:18], -v[51:52]
	v_add_f64 v[47:48], v[47:48], -v[49:50]
	s_delay_alu instid0(VALU_DEP_2) | instskip(NEXT) | instid1(VALU_DEP_2)
	v_add_f64 v[15:16], v[51:52], -v[15:16]
	v_add_f64 v[17:18], v[47:48], -v[17:18]
	s_delay_alu instid0(VALU_DEP_1) | instskip(NEXT) | instid1(VALU_DEP_1)
	v_add_f64 v[15:16], v[15:16], v[17:18]
	v_add_f64 v[15:16], v[49:50], v[15:16]
	s_delay_alu instid0(VALU_DEP_1) | instskip(NEXT) | instid1(VALU_DEP_1)
	v_mul_f64 v[15:16], v[43:44], v[15:16]
	v_add_f64 v[17:18], v[45:46], v[15:16]
	s_delay_alu instid0(VALU_DEP_1) | instskip(NEXT) | instid1(VALU_DEP_1)
	v_mul_f64 v[43:44], v[17:18], v[17:18]
	v_fma_f64 v[47:48], v[43:44], s[30:31], s[28:29]
	v_mul_f64 v[49:50], v[17:18], v[43:44]
	s_delay_alu instid0(VALU_DEP_2) | instskip(NEXT) | instid1(VALU_DEP_1)
	v_fma_f64 v[47:48], v[43:44], v[47:48], s[34:35]
	v_fma_f64 v[47:48], v[43:44], v[47:48], s[36:37]
	s_delay_alu instid0(VALU_DEP_1) | instskip(NEXT) | instid1(VALU_DEP_1)
	v_fma_f64 v[47:48], v[43:44], v[47:48], s[38:39]
	v_fma_f64 v[47:48], v[43:44], v[47:48], s[40:41]
	s_delay_alu instid0(VALU_DEP_1) | instskip(SKIP_3) | instid1(VALU_DEP_3)
	v_fma_f64 v[43:44], v[43:44], v[47:48], s[74:75]
	v_ldexp_f64 v[47:48], v[17:18], 1
	v_add_f64 v[17:18], v[17:18], -v[45:46]
	s_mov_b32 s75, exec_lo
	v_mul_f64 v[43:44], v[49:50], v[43:44]
	v_cvt_f64_i32_e32 v[49:50], v0
	s_delay_alu instid0(VALU_DEP_3) | instskip(SKIP_1) | instid1(VALU_DEP_1)
	v_add_f64 v[15:16], v[15:16], -v[17:18]
	v_mov_b32_e32 v0, v8
	v_lshlrev_b64 v[8:9], 21, v[0:1]
	s_delay_alu instid0(VALU_DEP_1) | instskip(NEXT) | instid1(VALU_DEP_1)
	v_xor_b32_e32 v0, v8, v7
	v_cvt_f64_u32_e32 v[7:8], v0
	v_add_f64 v[45:46], v[47:48], v[43:44]
	v_mul_f64 v[51:52], v[49:50], s[42:43]
	v_ldexp_f64 v[15:16], v[15:16], 1
	s_delay_alu instid0(VALU_DEP_3) | instskip(NEXT) | instid1(VALU_DEP_3)
	v_add_f64 v[17:18], v[45:46], -v[47:48]
	v_fma_f64 v[47:48], v[49:50], s[42:43], -v[51:52]
	s_delay_alu instid0(VALU_DEP_2) | instskip(NEXT) | instid1(VALU_DEP_2)
	v_add_f64 v[17:18], v[43:44], -v[17:18]
	v_fma_f64 v[43:44], v[49:50], s[44:45], v[47:48]
	s_delay_alu instid0(VALU_DEP_2) | instskip(NEXT) | instid1(VALU_DEP_2)
	v_add_f64 v[15:16], v[15:16], v[17:18]
	v_add_f64 v[17:18], v[51:52], v[43:44]
	s_delay_alu instid0(VALU_DEP_2) | instskip(NEXT) | instid1(VALU_DEP_2)
	v_add_f64 v[47:48], v[45:46], v[15:16]
	v_add_f64 v[51:52], v[17:18], -v[51:52]
	s_delay_alu instid0(VALU_DEP_2) | instskip(SKIP_1) | instid1(VALU_DEP_3)
	v_add_f64 v[49:50], v[17:18], v[47:48]
	v_add_f64 v[45:46], v[47:48], -v[45:46]
	v_add_f64 v[43:44], v[43:44], -v[51:52]
	s_delay_alu instid0(VALU_DEP_3) | instskip(NEXT) | instid1(VALU_DEP_3)
	v_add_f64 v[53:54], v[49:50], -v[17:18]
	v_add_f64 v[15:16], v[15:16], -v[45:46]
	s_delay_alu instid0(VALU_DEP_2) | instskip(SKIP_2) | instid1(VALU_DEP_4)
	v_add_f64 v[55:56], v[49:50], -v[53:54]
	v_add_f64 v[45:46], v[47:48], -v[53:54]
	v_cvt_f64_u32_e32 v[47:48], v9
	v_add_f64 v[51:52], v[43:44], v[15:16]
	s_delay_alu instid0(VALU_DEP_4) | instskip(NEXT) | instid1(VALU_DEP_1)
	v_add_f64 v[17:18], v[17:18], -v[55:56]
	v_add_f64 v[17:18], v[45:46], v[17:18]
	s_delay_alu instid0(VALU_DEP_4) | instskip(NEXT) | instid1(VALU_DEP_4)
	v_ldexp_f64 v[45:46], v[47:48], 32
	v_add_f64 v[47:48], v[51:52], -v[43:44]
	s_delay_alu instid0(VALU_DEP_3) | instskip(NEXT) | instid1(VALU_DEP_3)
	v_add_f64 v[17:18], v[51:52], v[17:18]
	v_add_f64 v[7:8], v[45:46], v[7:8]
	s_delay_alu instid0(VALU_DEP_3) | instskip(SKIP_1) | instid1(VALU_DEP_4)
	v_add_f64 v[45:46], v[51:52], -v[47:48]
	v_add_f64 v[15:16], v[15:16], -v[47:48]
	v_add_f64 v[51:52], v[49:50], v[17:18]
	s_delay_alu instid0(VALU_DEP_4) | instskip(NEXT) | instid1(VALU_DEP_4)
	v_fma_f64 v[8:9], 0x3cb00000, v[7:8], 0x3cb00000
	v_add_f64 v[43:44], v[43:44], -v[45:46]
	s_delay_alu instid0(VALU_DEP_3) | instskip(NEXT) | instid1(VALU_DEP_3)
	v_add_f64 v[45:46], v[51:52], -v[49:50]
	v_mul_f64 v[47:48], v[8:9], 0.5
	s_delay_alu instid0(VALU_DEP_3) | instskip(NEXT) | instid1(VALU_DEP_3)
	v_add_f64 v[15:16], v[15:16], v[43:44]
	v_add_f64 v[17:18], v[17:18], -v[45:46]
	s_delay_alu instid0(VALU_DEP_3) | instskip(SKIP_1) | instid1(VALU_DEP_3)
	v_fract_f64_e32 v[43:44], v[47:48]
	v_cmp_neq_f64_e32 vcc_lo, 0x7ff00000, v[47:48]
	v_add_f64 v[15:16], v[15:16], v[17:18]
	s_delay_alu instid0(VALU_DEP_3) | instskip(NEXT) | instid1(VALU_DEP_2)
	v_add_f64 v[17:18], v[43:44], v[43:44]
	v_add_f64 v[15:16], v[51:52], v[15:16]
	s_delay_alu instid0(VALU_DEP_2) | instskip(SKIP_1) | instid1(VALU_DEP_3)
	v_dual_cndmask_b32 v7, 0, v18 :: v_dual_cndmask_b32 v0, 0, v17
	v_cmp_lt_f64_e32 vcc_lo, 1.0, v[8:9]
	v_cndmask_b32_e64 v16, v16, v6, s0
	s_delay_alu instid0(VALU_DEP_4) | instskip(SKIP_2) | instid1(VALU_DEP_3)
	v_cndmask_b32_e64 v15, v15, v5, s0
	v_cmp_neq_f64_e64 s0, 0, v[5:6]
	v_dual_cndmask_b32 v6, v9, v7 :: v_dual_cndmask_b32 v5, v8, v0
	v_mul_f64 v[15:16], v[15:16], -2.0
	s_delay_alu instid0(VALU_DEP_2) | instskip(NEXT) | instid1(VALU_DEP_2)
	v_add_f64 v[17:18], v[5:6], v[5:6]
	v_cndmask_b32_e64 v16, 0x7ff00000, v16, s0
	s_delay_alu instid0(VALU_DEP_3) | instskip(SKIP_1) | instid1(VALU_DEP_2)
	v_cndmask_b32_e64 v15, 0, v15, s0
	v_cmp_lg_f64_e64 s0, 0x7ff00000, v[8:9]
	v_cmp_gt_f64_e32 vcc_lo, 0x10000000, v[15:16]
	v_cndmask_b32_e64 v0, 0, 1, vcc_lo
	v_cndmask_b32_e64 v7, 0, 0xffffff80, vcc_lo
	s_delay_alu instid0(VALU_DEP_2) | instskip(NEXT) | instid1(VALU_DEP_1)
	v_lshlrev_b32_e32 v0, 8, v0
	v_ldexp_f64 v[44:45], v[15:16], v0
	v_rndne_f64_e32 v[15:16], v[17:18]
	s_delay_alu instid0(VALU_DEP_2) | instskip(NEXT) | instid1(VALU_DEP_1)
	v_rsq_f64_e32 v[17:18], v[44:45]
	v_fma_f64 v[5:6], v[15:16], -0.5, v[5:6]
	v_cvt_i32_f64_e32 v0, v[15:16]
	v_cmp_class_f64_e64 vcc_lo, v[44:45], 0x260
	s_delay_alu instid0(VALU_DEP_3)
	v_mul_f64 v[48:49], v[5:6], v[5:6]
	s_waitcnt_depctr 0xfff
	v_mul_f64 v[46:47], v[44:45], v[17:18]
	v_mul_f64 v[17:18], v[17:18], 0.5
	v_lshlrev_b32_e32 v43, 30, v0
	v_fma_f64 v[52:53], v[48:49], s[48:49], s[46:47]
	v_fma_f64 v[54:55], v[48:49], s[62:63], s[60:61]
	s_delay_alu instid0(VALU_DEP_4) | instskip(SKIP_1) | instid1(VALU_DEP_4)
	v_fma_f64 v[50:51], -v[17:18], v[46:47], 0.5
	v_mul_f64 v[56:57], v[5:6], v[48:49]
	v_fma_f64 v[52:53], v[48:49], v[52:53], s[50:51]
	s_delay_alu instid0(VALU_DEP_4) | instskip(NEXT) | instid1(VALU_DEP_4)
	v_fma_f64 v[54:55], v[48:49], v[54:55], s[64:65]
	v_fma_f64 v[46:47], v[46:47], v[50:51], v[46:47]
	;; [unrolled: 1-line block ×3, first 2 shown]
	s_delay_alu instid0(VALU_DEP_4) | instskip(NEXT) | instid1(VALU_DEP_4)
	v_fma_f64 v[52:53], v[48:49], v[52:53], s[52:53]
	v_fma_f64 v[54:55], v[48:49], v[54:55], s[66:67]
	s_delay_alu instid0(VALU_DEP_4) | instskip(NEXT) | instid1(VALU_DEP_1)
	v_fma_f64 v[50:51], -v[46:47], v[46:47], v[44:45]
	v_fma_f64 v[46:47], v[50:51], v[17:18], v[46:47]
	s_delay_alu instid0(VALU_DEP_4) | instskip(NEXT) | instid1(VALU_DEP_4)
	v_fma_f64 v[50:51], v[48:49], v[52:53], s[54:55]
	v_fma_f64 v[52:53], v[48:49], v[54:55], s[68:69]
	s_delay_alu instid0(VALU_DEP_3) | instskip(NEXT) | instid1(VALU_DEP_3)
	v_fma_f64 v[54:55], -v[46:47], v[46:47], v[44:45]
	v_fma_f64 v[50:51], v[48:49], v[50:51], s[56:57]
	s_delay_alu instid0(VALU_DEP_3) | instskip(NEXT) | instid1(VALU_DEP_3)
	v_fma_f64 v[52:53], v[48:49], v[52:53], s[70:71]
	v_fma_f64 v[17:18], v[54:55], v[17:18], v[46:47]
	s_delay_alu instid0(VALU_DEP_3) | instskip(NEXT) | instid1(VALU_DEP_3)
	v_mul_f64 v[46:47], v[56:57], v[50:51]
	v_fma_f64 v[50:51], v[48:49], v[52:53], s[72:73]
	s_delay_alu instid0(VALU_DEP_3) | instskip(NEXT) | instid1(VALU_DEP_3)
	v_ldexp_f64 v[17:18], v[17:18], v7
	v_fma_f64 v[7:8], v[5:6], s[58:59], v[46:47]
	s_delay_alu instid0(VALU_DEP_3) | instskip(NEXT) | instid1(VALU_DEP_3)
	v_fma_f64 v[15:16], v[48:49], v[50:51], 1.0
	v_dual_cndmask_b32 v6, v18, v45 :: v_dual_and_b32 v5, 1, v0
	s_delay_alu instid0(VALU_DEP_1)
	v_cmp_eq_u32_e64 s1, 0, v5
	v_cndmask_b32_e32 v5, v17, v44, vcc_lo
	v_cmpx_gt_i64_e64 s[16:17], v[12:13]
	s_cbranch_execz .LBB9_34
; %bb.20:                               ;   in Loop: Header=BB9_9 Depth=1
	s_and_not1_b32 vcc_lo, exec_lo, s11
	s_cbranch_vccnz .LBB9_26
; %bb.21:                               ;   in Loop: Header=BB9_9 Depth=1
	v_mov_b32_e32 v0, 0
	s_and_not1_b32 vcc_lo, exec_lo, s80
	s_cbranch_vccnz .LBB9_30
; %bb.22:                               ;   in Loop: Header=BB9_9 Depth=1
	s_and_not1_b32 vcc_lo, exec_lo, s83
	s_mov_b32 s2, 0
	s_cbranch_vccnz .LBB9_27
; %bb.23:                               ;   in Loop: Header=BB9_9 Depth=1
	v_dual_mov_b32 v0, 0 :: v_dual_mov_b32 v17, v12
	s_mov_b32 s87, 0
	s_mov_b64 s[2:3], s[20:21]
	s_mov_b64 s[76:77], s[26:27]
.LBB9_24:                               ;   Parent Loop BB9_9 Depth=1
                                        ; =>  This Inner Loop Header: Depth=2
	s_clause 0x1
	s_load_b256 s[88:95], s[2:3], 0x4
	s_load_b128 s[96:99], s[2:3], 0x24
	s_load_b128 s[100:103], s[76:77], 0x0
	s_add_u32 s2, s2, 48
	s_addc_u32 s3, s3, 0
	s_add_i32 s87, s87, 4
	s_add_u32 s76, s76, 16
	s_addc_u32 s77, s77, 0
	s_cmp_lg_u32 s84, s87
	s_waitcnt lgkmcnt(0)
	v_mul_hi_u32 v18, s89, v17
	s_delay_alu instid0(VALU_DEP_1) | instskip(NEXT) | instid1(VALU_DEP_1)
	v_add_nc_u32_e32 v18, v17, v18
	v_lshrrev_b32_e32 v18, s90, v18
	s_delay_alu instid0(VALU_DEP_1) | instskip(SKIP_1) | instid1(VALU_DEP_2)
	v_mul_hi_u32 v44, s92, v18
	v_mul_lo_u32 v47, v18, s88
	v_add_nc_u32_e32 v44, v18, v44
	s_delay_alu instid0(VALU_DEP_2) | instskip(NEXT) | instid1(VALU_DEP_2)
	v_sub_nc_u32_e32 v47, v17, v47
	v_lshrrev_b32_e32 v44, s93, v44
	s_delay_alu instid0(VALU_DEP_2) | instskip(NEXT) | instid1(VALU_DEP_2)
	v_mul_lo_u32 v47, v47, s100
	v_mul_hi_u32 v45, s95, v44
	v_mul_lo_u32 v48, v44, s91
	s_delay_alu instid0(VALU_DEP_2) | instskip(NEXT) | instid1(VALU_DEP_2)
	v_add_nc_u32_e32 v45, v44, v45
	v_sub_nc_u32_e32 v18, v18, v48
	s_delay_alu instid0(VALU_DEP_2) | instskip(NEXT) | instid1(VALU_DEP_2)
	v_lshrrev_b32_e32 v45, s96, v45
	v_mul_lo_u32 v18, v18, s101
	s_delay_alu instid0(VALU_DEP_2) | instskip(NEXT) | instid1(VALU_DEP_2)
	v_mul_hi_u32 v46, s98, v45
	v_add3_u32 v0, v47, v0, v18
	s_delay_alu instid0(VALU_DEP_2) | instskip(NEXT) | instid1(VALU_DEP_1)
	v_add_nc_u32_e32 v46, v45, v46
	v_lshrrev_b32_e32 v17, s99, v46
	v_mul_lo_u32 v46, v45, s94
	s_delay_alu instid0(VALU_DEP_2) | instskip(NEXT) | instid1(VALU_DEP_2)
	v_mul_lo_u32 v49, v17, s97
	v_sub_nc_u32_e32 v44, v44, v46
	s_delay_alu instid0(VALU_DEP_2) | instskip(NEXT) | instid1(VALU_DEP_2)
	v_sub_nc_u32_e32 v45, v45, v49
	v_mul_lo_u32 v44, v44, s102
	s_delay_alu instid0(VALU_DEP_2) | instskip(NEXT) | instid1(VALU_DEP_1)
	v_mul_lo_u32 v45, v45, s103
	v_add3_u32 v0, v44, v0, v45
	s_cbranch_scc1 .LBB9_24
; %bb.25:                               ;   in Loop: Header=BB9_9 Depth=1
	s_mov_b32 s2, s84
	s_and_not1_b32 vcc_lo, exec_lo, s86
	s_cbranch_vccz .LBB9_28
	s_branch .LBB9_30
.LBB9_26:                               ;   in Loop: Header=BB9_9 Depth=1
                                        ; implicit-def: $vgpr0
	s_branch .LBB9_31
.LBB9_27:                               ;   in Loop: Header=BB9_9 Depth=1
	v_mov_b32_e32 v17, v12
	s_and_not1_b32 vcc_lo, exec_lo, s86
	s_cbranch_vccnz .LBB9_30
.LBB9_28:                               ;   in Loop: Header=BB9_9 Depth=1
	s_lshl_b32 s3, s2, 2
	s_mul_i32 s76, s2, 12
	s_add_u32 s2, s26, s3
	s_addc_u32 s3, s27, 0
	s_add_u32 s76, s20, s76
	s_addc_u32 s77, s21, 0
	s_mov_b32 s87, s82
	.p2align	6
.LBB9_29:                               ;   Parent Loop BB9_9 Depth=1
                                        ; =>  This Inner Loop Header: Depth=2
	s_clause 0x1
	s_load_b64 s[88:89], s[76:77], 0x4
	s_load_b32 s90, s[76:77], 0xc
	s_add_u32 s76, s76, 12
	s_addc_u32 s77, s77, 0
	s_waitcnt lgkmcnt(0)
	v_mul_hi_u32 v18, s89, v17
	s_load_b32 s89, s[2:3], 0x0
	s_add_u32 s2, s2, 4
	s_addc_u32 s3, s3, 0
	s_add_i32 s87, s87, -1
	s_delay_alu instid0(SALU_CYCLE_1) | instskip(NEXT) | instid1(VALU_DEP_1)
	s_cmp_lg_u32 s87, 0
	v_add_nc_u32_e32 v18, v17, v18
	s_delay_alu instid0(VALU_DEP_1) | instskip(NEXT) | instid1(VALU_DEP_1)
	v_lshrrev_b32_e32 v18, s90, v18
	v_mul_lo_u32 v44, v18, s88
	s_delay_alu instid0(VALU_DEP_1) | instskip(SKIP_1) | instid1(VALU_DEP_1)
	v_sub_nc_u32_e32 v17, v17, v44
	s_waitcnt lgkmcnt(0)
	v_mad_u64_u32 v[44:45], null, v17, s89, v[0:1]
	s_delay_alu instid0(VALU_DEP_1)
	v_dual_mov_b32 v17, v18 :: v_dual_mov_b32 v0, v44
	s_cbranch_scc1 .LBB9_29
.LBB9_30:                               ;   in Loop: Header=BB9_9 Depth=1
	s_cbranch_execnz .LBB9_33
.LBB9_31:                               ;   in Loop: Header=BB9_9 Depth=1
	v_mul_hi_u32 v0, v12, s6
	s_and_not1_b32 vcc_lo, exec_lo, s9
	s_delay_alu instid0(VALU_DEP_1) | instskip(NEXT) | instid1(VALU_DEP_1)
	v_add_nc_u32_e32 v0, v0, v12
	v_lshrrev_b32_e32 v17, s7, v0
	s_delay_alu instid0(VALU_DEP_1) | instskip(NEXT) | instid1(VALU_DEP_1)
	v_mul_lo_u32 v0, v17, s5
	v_sub_nc_u32_e32 v0, v12, v0
	s_delay_alu instid0(VALU_DEP_1)
	v_mul_lo_u32 v0, v0, s22
	s_cbranch_vccnz .LBB9_33
; %bb.32:                               ;   in Loop: Header=BB9_9 Depth=1
	v_mul_hi_u32 v18, s4, v17
	s_delay_alu instid0(VALU_DEP_1) | instskip(NEXT) | instid1(VALU_DEP_1)
	v_add_nc_u32_e32 v18, v17, v18
	v_lshrrev_b32_e32 v18, s10, v18
	s_delay_alu instid0(VALU_DEP_1) | instskip(NEXT) | instid1(VALU_DEP_1)
	v_mul_lo_u32 v18, v18, s8
	v_sub_nc_u32_e32 v44, v17, v18
	s_delay_alu instid0(VALU_DEP_1) | instskip(NEXT) | instid1(VALU_DEP_1)
	v_mad_u64_u32 v[17:18], null, v44, s23, v[0:1]
	v_mov_b32_e32 v0, v17
.LBB9_33:                               ;   in Loop: Header=BB9_9 Depth=1
	v_xor_b32_e32 v9, v43, v9
	v_cndmask_b32_e64 v17, v16, v8, s1
	v_cndmask_b32_e64 v18, v15, v7, s1
	s_delay_alu instid0(VALU_DEP_3) | instskip(NEXT) | instid1(VALU_DEP_1)
	v_and_b32_e32 v9, 0x80000000, v9
	v_xor_b32_e32 v9, v17, v9
	s_delay_alu instid0(VALU_DEP_3) | instskip(NEXT) | instid1(VALU_DEP_2)
	v_cndmask_b32_e64 v17, 0, v18, s0
	v_cndmask_b32_e64 v18, 0x7ff80000, v9, s0
	s_delay_alu instid0(VALU_DEP_1) | instskip(NEXT) | instid1(VALU_DEP_1)
	v_mul_f64 v[17:18], v[5:6], v[17:18]
	v_cvt_f32_f64_e32 v9, v[17:18]
	s_delay_alu instid0(VALU_DEP_1) | instskip(NEXT) | instid1(VALU_DEP_1)
	v_fma_f32 v9, s15, v9, s14
	v_mul_f32_e32 v17, 0x3fb8aa3b, v9
	v_cmp_ngt_f32_e32 vcc_lo, 0xc2ce8ed0, v9
	s_delay_alu instid0(VALU_DEP_2) | instskip(SKIP_1) | instid1(VALU_DEP_1)
	v_fma_f32 v18, 0x3fb8aa3b, v9, -v17
	v_rndne_f32_e32 v44, v17
	v_dual_fmac_f32 v18, 0x32a5705f, v9 :: v_dual_sub_f32 v17, v17, v44
	s_delay_alu instid0(VALU_DEP_1) | instskip(SKIP_1) | instid1(VALU_DEP_2)
	v_add_f32_e32 v17, v17, v18
	v_cvt_i32_f32_e32 v18, v44
	v_exp_f32_e32 v17, v17
	s_waitcnt_depctr 0xfff
	v_ldexp_f32 v17, v17, v18
	s_delay_alu instid0(VALU_DEP_1) | instskip(SKIP_1) | instid1(VALU_DEP_2)
	v_cndmask_b32_e32 v17, 0, v17, vcc_lo
	v_cmp_nlt_f32_e32 vcc_lo, 0x42b17218, v9
	v_cndmask_b32_e32 v9, 0x7f800000, v17, vcc_lo
	s_delay_alu instid0(VALU_DEP_1)
	v_cvt_f16_f32_e32 v9, v9
	global_store_b16 v0, v9, s[12:13]
.LBB9_34:                               ;   in Loop: Header=BB9_9 Depth=1
	s_or_b32 exec_lo, exec_lo, s75
	v_add_co_u32 v17, vcc_lo, v12, s33
	v_add_co_ci_u32_e32 v18, vcc_lo, 0, v13, vcc_lo
	s_mov_b32 s75, exec_lo
	s_delay_alu instid0(VALU_DEP_1)
	v_cmpx_gt_i64_e64 s[16:17], v[17:18]
	s_cbranch_execz .LBB9_49
; %bb.35:                               ;   in Loop: Header=BB9_9 Depth=1
	s_and_not1_b32 vcc_lo, exec_lo, s11
	s_cbranch_vccnz .LBB9_41
; %bb.36:                               ;   in Loop: Header=BB9_9 Depth=1
	v_mov_b32_e32 v0, 0
	s_and_not1_b32 vcc_lo, exec_lo, s80
	s_cbranch_vccnz .LBB9_45
; %bb.37:                               ;   in Loop: Header=BB9_9 Depth=1
	s_and_not1_b32 vcc_lo, exec_lo, s83
	s_mov_b32 s2, 0
	s_cbranch_vccnz .LBB9_42
; %bb.38:                               ;   in Loop: Header=BB9_9 Depth=1
	v_dual_mov_b32 v0, 0 :: v_dual_mov_b32 v9, v17
	s_mov_b32 s87, 0
	s_mov_b64 s[2:3], s[20:21]
	s_mov_b64 s[76:77], s[26:27]
.LBB9_39:                               ;   Parent Loop BB9_9 Depth=1
                                        ; =>  This Inner Loop Header: Depth=2
	s_clause 0x1
	s_load_b256 s[88:95], s[2:3], 0x4
	s_load_b128 s[96:99], s[2:3], 0x24
	s_load_b128 s[100:103], s[76:77], 0x0
	s_add_u32 s2, s2, 48
	s_addc_u32 s3, s3, 0
	s_add_i32 s87, s87, 4
	s_add_u32 s76, s76, 16
	s_addc_u32 s77, s77, 0
	s_cmp_eq_u32 s84, s87
	s_waitcnt lgkmcnt(0)
	v_mul_hi_u32 v18, s89, v9
	s_delay_alu instid0(VALU_DEP_1) | instskip(NEXT) | instid1(VALU_DEP_1)
	v_add_nc_u32_e32 v18, v9, v18
	v_lshrrev_b32_e32 v18, s90, v18
	s_delay_alu instid0(VALU_DEP_1) | instskip(SKIP_1) | instid1(VALU_DEP_2)
	v_mul_hi_u32 v44, s92, v18
	v_mul_lo_u32 v47, v18, s88
	v_add_nc_u32_e32 v44, v18, v44
	s_delay_alu instid0(VALU_DEP_2) | instskip(NEXT) | instid1(VALU_DEP_2)
	v_sub_nc_u32_e32 v47, v9, v47
	v_lshrrev_b32_e32 v44, s93, v44
	s_delay_alu instid0(VALU_DEP_2) | instskip(NEXT) | instid1(VALU_DEP_2)
	v_mul_lo_u32 v47, v47, s100
	v_mul_hi_u32 v45, s95, v44
	v_mul_lo_u32 v48, v44, s91
	s_delay_alu instid0(VALU_DEP_2) | instskip(NEXT) | instid1(VALU_DEP_2)
	v_add_nc_u32_e32 v45, v44, v45
	v_sub_nc_u32_e32 v18, v18, v48
	s_delay_alu instid0(VALU_DEP_2) | instskip(NEXT) | instid1(VALU_DEP_2)
	v_lshrrev_b32_e32 v45, s96, v45
	v_mul_lo_u32 v18, v18, s101
	s_delay_alu instid0(VALU_DEP_2) | instskip(NEXT) | instid1(VALU_DEP_2)
	v_mul_hi_u32 v46, s98, v45
	v_add3_u32 v0, v47, v0, v18
	s_delay_alu instid0(VALU_DEP_2) | instskip(NEXT) | instid1(VALU_DEP_1)
	v_add_nc_u32_e32 v46, v45, v46
	v_lshrrev_b32_e32 v9, s99, v46
	v_mul_lo_u32 v46, v45, s94
	s_delay_alu instid0(VALU_DEP_2) | instskip(NEXT) | instid1(VALU_DEP_2)
	v_mul_lo_u32 v49, v9, s97
	v_sub_nc_u32_e32 v44, v44, v46
	s_delay_alu instid0(VALU_DEP_2) | instskip(NEXT) | instid1(VALU_DEP_2)
	v_sub_nc_u32_e32 v45, v45, v49
	v_mul_lo_u32 v44, v44, s102
	s_delay_alu instid0(VALU_DEP_2) | instskip(NEXT) | instid1(VALU_DEP_1)
	v_mul_lo_u32 v45, v45, s103
	v_add3_u32 v0, v44, v0, v45
	s_cbranch_scc0 .LBB9_39
; %bb.40:                               ;   in Loop: Header=BB9_9 Depth=1
	s_mov_b32 s2, s84
	s_and_not1_b32 vcc_lo, exec_lo, s86
	s_cbranch_vccz .LBB9_43
	s_branch .LBB9_45
.LBB9_41:                               ;   in Loop: Header=BB9_9 Depth=1
                                        ; implicit-def: $vgpr0
	s_branch .LBB9_46
.LBB9_42:                               ;   in Loop: Header=BB9_9 Depth=1
	v_mov_b32_e32 v9, v17
	s_and_not1_b32 vcc_lo, exec_lo, s86
	s_cbranch_vccnz .LBB9_45
.LBB9_43:                               ;   in Loop: Header=BB9_9 Depth=1
	s_lshl_b32 s3, s2, 2
	s_mul_i32 s76, s2, 12
	s_add_u32 s2, s26, s3
	s_addc_u32 s3, s27, 0
	s_add_u32 s76, s20, s76
	s_addc_u32 s77, s21, 0
	s_mov_b32 s87, s82
	.p2align	6
.LBB9_44:                               ;   Parent Loop BB9_9 Depth=1
                                        ; =>  This Inner Loop Header: Depth=2
	s_clause 0x1
	s_load_b64 s[88:89], s[76:77], 0x4
	s_load_b32 s90, s[76:77], 0xc
	s_add_u32 s76, s76, 12
	s_addc_u32 s77, s77, 0
	s_waitcnt lgkmcnt(0)
	v_mul_hi_u32 v18, s89, v9
	s_load_b32 s89, s[2:3], 0x0
	s_add_u32 s2, s2, 4
	s_addc_u32 s3, s3, 0
	s_add_i32 s87, s87, -1
	s_delay_alu instid0(SALU_CYCLE_1) | instskip(NEXT) | instid1(VALU_DEP_1)
	s_cmp_lg_u32 s87, 0
	v_add_nc_u32_e32 v18, v9, v18
	s_delay_alu instid0(VALU_DEP_1) | instskip(NEXT) | instid1(VALU_DEP_1)
	v_lshrrev_b32_e32 v18, s90, v18
	v_mul_lo_u32 v44, v18, s88
	s_delay_alu instid0(VALU_DEP_1) | instskip(SKIP_1) | instid1(VALU_DEP_1)
	v_sub_nc_u32_e32 v9, v9, v44
	s_waitcnt lgkmcnt(0)
	v_mad_u64_u32 v[44:45], null, v9, s89, v[0:1]
	s_delay_alu instid0(VALU_DEP_1)
	v_dual_mov_b32 v9, v18 :: v_dual_mov_b32 v0, v44
	s_cbranch_scc1 .LBB9_44
.LBB9_45:                               ;   in Loop: Header=BB9_9 Depth=1
	s_cbranch_execnz .LBB9_48
.LBB9_46:                               ;   in Loop: Header=BB9_9 Depth=1
	v_mul_hi_u32 v0, v17, s6
	s_and_not1_b32 vcc_lo, exec_lo, s9
	s_delay_alu instid0(VALU_DEP_1) | instskip(NEXT) | instid1(VALU_DEP_1)
	v_add_nc_u32_e32 v0, v0, v17
	v_lshrrev_b32_e32 v9, s7, v0
	s_delay_alu instid0(VALU_DEP_1) | instskip(NEXT) | instid1(VALU_DEP_1)
	v_mul_lo_u32 v0, v9, s5
	v_sub_nc_u32_e32 v0, v17, v0
	s_delay_alu instid0(VALU_DEP_1)
	v_mul_lo_u32 v0, v0, s22
	s_cbranch_vccnz .LBB9_48
; %bb.47:                               ;   in Loop: Header=BB9_9 Depth=1
	v_mul_hi_u32 v17, s4, v9
	s_delay_alu instid0(VALU_DEP_1) | instskip(NEXT) | instid1(VALU_DEP_1)
	v_add_nc_u32_e32 v17, v9, v17
	v_lshrrev_b32_e32 v17, s10, v17
	s_delay_alu instid0(VALU_DEP_1) | instskip(NEXT) | instid1(VALU_DEP_1)
	v_mul_lo_u32 v17, v17, s8
	v_sub_nc_u32_e32 v9, v9, v17
	s_delay_alu instid0(VALU_DEP_1) | instskip(NEXT) | instid1(VALU_DEP_1)
	v_mad_u64_u32 v[17:18], null, v9, s23, v[0:1]
	v_mov_b32_e32 v0, v17
.LBB9_48:                               ;   in Loop: Header=BB9_9 Depth=1
	v_xor_b32_e32 v8, 0x80000000, v8
	v_and_b32_e32 v9, 0x80000000, v43
	v_cndmask_b32_e64 v7, v7, v15, s1
	s_delay_alu instid0(VALU_DEP_3) | instskip(NEXT) | instid1(VALU_DEP_2)
	v_cndmask_b32_e64 v8, v8, v16, s1
	v_cndmask_b32_e64 v7, 0, v7, s0
	s_delay_alu instid0(VALU_DEP_2) | instskip(NEXT) | instid1(VALU_DEP_1)
	v_xor_b32_e32 v8, v8, v9
	v_cndmask_b32_e64 v8, 0x7ff80000, v8, s0
	s_delay_alu instid0(VALU_DEP_1) | instskip(NEXT) | instid1(VALU_DEP_1)
	v_mul_f64 v[5:6], v[5:6], v[7:8]
	v_cvt_f32_f64_e32 v5, v[5:6]
	s_delay_alu instid0(VALU_DEP_1) | instskip(NEXT) | instid1(VALU_DEP_1)
	v_fma_f32 v5, s15, v5, s14
	v_mul_f32_e32 v6, 0x3fb8aa3b, v5
	v_cmp_ngt_f32_e32 vcc_lo, 0xc2ce8ed0, v5
	s_delay_alu instid0(VALU_DEP_2) | instskip(SKIP_1) | instid1(VALU_DEP_1)
	v_fma_f32 v7, 0x3fb8aa3b, v5, -v6
	v_rndne_f32_e32 v8, v6
	v_dual_fmac_f32 v7, 0x32a5705f, v5 :: v_dual_sub_f32 v6, v6, v8
	s_delay_alu instid0(VALU_DEP_1) | instskip(SKIP_1) | instid1(VALU_DEP_2)
	v_add_f32_e32 v6, v6, v7
	v_cvt_i32_f32_e32 v7, v8
	v_exp_f32_e32 v6, v6
	s_waitcnt_depctr 0xfff
	v_ldexp_f32 v6, v6, v7
	s_delay_alu instid0(VALU_DEP_1) | instskip(SKIP_1) | instid1(VALU_DEP_2)
	v_cndmask_b32_e32 v6, 0, v6, vcc_lo
	v_cmp_nlt_f32_e32 vcc_lo, 0x42b17218, v5
	v_cndmask_b32_e32 v5, 0x7f800000, v6, vcc_lo
	s_delay_alu instid0(VALU_DEP_1)
	v_cvt_f16_f32_e32 v5, v5
	global_store_b16 v0, v5, s[12:13]
.LBB9_49:                               ;   in Loop: Header=BB9_9 Depth=1
	s_or_b32 exec_lo, exec_lo, s75
	v_add_co_u32 v5, vcc_lo, v12, s81
	v_add_co_ci_u32_e32 v6, vcc_lo, 0, v13, vcc_lo
	s_mov_b32 s75, exec_lo
	s_delay_alu instid0(VALU_DEP_1)
	v_cmpx_gt_i64_e64 s[16:17], v[5:6]
	s_cbranch_execz .LBB9_64
; %bb.50:                               ;   in Loop: Header=BB9_9 Depth=1
	s_and_not1_b32 vcc_lo, exec_lo, s11
	s_cbranch_vccnz .LBB9_56
; %bb.51:                               ;   in Loop: Header=BB9_9 Depth=1
	v_mov_b32_e32 v0, 0
	s_and_not1_b32 vcc_lo, exec_lo, s80
	s_cbranch_vccnz .LBB9_60
; %bb.52:                               ;   in Loop: Header=BB9_9 Depth=1
	s_and_not1_b32 vcc_lo, exec_lo, s83
	s_mov_b32 s0, 0
	s_cbranch_vccnz .LBB9_57
; %bb.53:                               ;   in Loop: Header=BB9_9 Depth=1
	v_mov_b32_e32 v0, 0
	v_mov_b32_e32 v6, v5
	s_mov_b32 s76, 0
	s_mov_b64 s[0:1], s[20:21]
	s_mov_b64 s[2:3], s[26:27]
.LBB9_54:                               ;   Parent Loop BB9_9 Depth=1
                                        ; =>  This Inner Loop Header: Depth=2
	s_clause 0x1
	s_load_b256 s[88:95], s[0:1], 0x4
	s_load_b128 s[96:99], s[0:1], 0x24
	s_load_b128 s[100:103], s[2:3], 0x0
	s_add_u32 s0, s0, 48
	s_addc_u32 s1, s1, 0
	s_add_i32 s76, s76, 4
	s_add_u32 s2, s2, 16
	s_addc_u32 s3, s3, 0
	s_cmp_eq_u32 s84, s76
	s_waitcnt lgkmcnt(0)
	v_mul_hi_u32 v7, s89, v6
	s_delay_alu instid0(VALU_DEP_1) | instskip(NEXT) | instid1(VALU_DEP_1)
	v_add_nc_u32_e32 v7, v6, v7
	v_lshrrev_b32_e32 v7, s90, v7
	s_delay_alu instid0(VALU_DEP_1) | instskip(SKIP_1) | instid1(VALU_DEP_2)
	v_mul_hi_u32 v8, s92, v7
	v_mul_lo_u32 v16, v7, s88
	v_add_nc_u32_e32 v8, v7, v8
	s_delay_alu instid0(VALU_DEP_2) | instskip(NEXT) | instid1(VALU_DEP_2)
	v_sub_nc_u32_e32 v16, v6, v16
	v_lshrrev_b32_e32 v8, s93, v8
	s_delay_alu instid0(VALU_DEP_2) | instskip(NEXT) | instid1(VALU_DEP_2)
	v_mul_lo_u32 v16, v16, s100
	v_mul_hi_u32 v9, s95, v8
	v_mul_lo_u32 v17, v8, s91
	s_delay_alu instid0(VALU_DEP_2) | instskip(NEXT) | instid1(VALU_DEP_2)
	v_add_nc_u32_e32 v9, v8, v9
	v_sub_nc_u32_e32 v7, v7, v17
	s_delay_alu instid0(VALU_DEP_2) | instskip(NEXT) | instid1(VALU_DEP_2)
	v_lshrrev_b32_e32 v9, s96, v9
	v_mul_lo_u32 v7, v7, s101
	s_delay_alu instid0(VALU_DEP_2) | instskip(NEXT) | instid1(VALU_DEP_2)
	v_mul_hi_u32 v15, s98, v9
	v_add3_u32 v0, v16, v0, v7
	s_delay_alu instid0(VALU_DEP_2) | instskip(NEXT) | instid1(VALU_DEP_1)
	v_add_nc_u32_e32 v15, v9, v15
	v_lshrrev_b32_e32 v6, s99, v15
	v_mul_lo_u32 v15, v9, s94
	s_delay_alu instid0(VALU_DEP_2) | instskip(NEXT) | instid1(VALU_DEP_2)
	v_mul_lo_u32 v18, v6, s97
	v_sub_nc_u32_e32 v8, v8, v15
	s_delay_alu instid0(VALU_DEP_2) | instskip(NEXT) | instid1(VALU_DEP_2)
	v_sub_nc_u32_e32 v9, v9, v18
	v_mul_lo_u32 v8, v8, s102
	s_delay_alu instid0(VALU_DEP_2) | instskip(NEXT) | instid1(VALU_DEP_1)
	v_mul_lo_u32 v9, v9, s103
	v_add3_u32 v0, v8, v0, v9
	s_cbranch_scc0 .LBB9_54
; %bb.55:                               ;   in Loop: Header=BB9_9 Depth=1
	s_mov_b32 s0, s84
	s_and_not1_b32 vcc_lo, exec_lo, s86
	s_cbranch_vccz .LBB9_58
	s_branch .LBB9_60
.LBB9_56:                               ;   in Loop: Header=BB9_9 Depth=1
                                        ; implicit-def: $vgpr0
	s_branch .LBB9_61
.LBB9_57:                               ;   in Loop: Header=BB9_9 Depth=1
	v_mov_b32_e32 v6, v5
	s_and_not1_b32 vcc_lo, exec_lo, s86
	s_cbranch_vccnz .LBB9_60
.LBB9_58:                               ;   in Loop: Header=BB9_9 Depth=1
	s_lshl_b32 s1, s0, 2
	s_mul_i32 s2, s0, 12
	s_add_u32 s0, s26, s1
	s_addc_u32 s1, s27, 0
	s_add_u32 s2, s20, s2
	s_addc_u32 s3, s21, 0
	s_mov_b32 s76, s82
	.p2align	6
.LBB9_59:                               ;   Parent Loop BB9_9 Depth=1
                                        ; =>  This Inner Loop Header: Depth=2
	s_clause 0x1
	s_load_b64 s[88:89], s[2:3], 0x4
	s_load_b32 s77, s[2:3], 0xc
	s_load_b32 s87, s[0:1], 0x0
	s_add_u32 s2, s2, 12
	s_addc_u32 s3, s3, 0
	s_add_u32 s0, s0, 4
	s_addc_u32 s1, s1, 0
	s_add_i32 s76, s76, -1
	s_delay_alu instid0(SALU_CYCLE_1) | instskip(SKIP_2) | instid1(VALU_DEP_1)
	s_cmp_lg_u32 s76, 0
	s_waitcnt lgkmcnt(0)
	v_mul_hi_u32 v7, s89, v6
	v_add_nc_u32_e32 v7, v6, v7
	s_delay_alu instid0(VALU_DEP_1) | instskip(NEXT) | instid1(VALU_DEP_1)
	v_lshrrev_b32_e32 v9, s77, v7
	v_mul_lo_u32 v7, v9, s88
	s_delay_alu instid0(VALU_DEP_1) | instskip(NEXT) | instid1(VALU_DEP_1)
	v_sub_nc_u32_e32 v6, v6, v7
	v_mad_u64_u32 v[7:8], null, v6, s87, v[0:1]
	v_mov_b32_e32 v6, v9
	s_delay_alu instid0(VALU_DEP_2)
	v_mov_b32_e32 v0, v7
	s_cbranch_scc1 .LBB9_59
.LBB9_60:                               ;   in Loop: Header=BB9_9 Depth=1
	s_cbranch_execnz .LBB9_63
.LBB9_61:                               ;   in Loop: Header=BB9_9 Depth=1
	v_mul_hi_u32 v0, v5, s6
	s_and_not1_b32 vcc_lo, exec_lo, s9
	s_delay_alu instid0(VALU_DEP_1) | instskip(NEXT) | instid1(VALU_DEP_1)
	v_add_nc_u32_e32 v0, v0, v5
	v_lshrrev_b32_e32 v6, s7, v0
	s_delay_alu instid0(VALU_DEP_1) | instskip(NEXT) | instid1(VALU_DEP_1)
	v_mul_lo_u32 v0, v6, s5
	v_sub_nc_u32_e32 v0, v5, v0
	s_delay_alu instid0(VALU_DEP_1)
	v_mul_lo_u32 v0, v0, s22
	s_cbranch_vccnz .LBB9_63
; %bb.62:                               ;   in Loop: Header=BB9_9 Depth=1
	v_mul_hi_u32 v5, s4, v6
	s_delay_alu instid0(VALU_DEP_1) | instskip(NEXT) | instid1(VALU_DEP_1)
	v_add_nc_u32_e32 v5, v6, v5
	v_lshrrev_b32_e32 v5, s10, v5
	s_delay_alu instid0(VALU_DEP_1) | instskip(NEXT) | instid1(VALU_DEP_1)
	v_mul_lo_u32 v5, v5, s8
	v_sub_nc_u32_e32 v7, v6, v5
	s_delay_alu instid0(VALU_DEP_1) | instskip(NEXT) | instid1(VALU_DEP_1)
	v_mad_u64_u32 v[5:6], null, v7, s23, v[0:1]
	v_mov_b32_e32 v0, v5
.LBB9_63:                               ;   in Loop: Header=BB9_9 Depth=1
	global_store_b16 v0, v40, s[12:13]
.LBB9_64:                               ;   in Loop: Header=BB9_9 Depth=1
	s_or_b32 exec_lo, exec_lo, s75
	v_add_co_u32 v5, vcc_lo, v12, s85
	v_add_co_ci_u32_e32 v6, vcc_lo, 0, v13, vcc_lo
	s_mov_b32 s75, exec_lo
	s_delay_alu instid0(VALU_DEP_1)
	v_cmpx_gt_i64_e64 s[16:17], v[5:6]
	s_cbranch_execz .LBB9_8
; %bb.65:                               ;   in Loop: Header=BB9_9 Depth=1
	s_and_not1_b32 vcc_lo, exec_lo, s11
	s_cbranch_vccnz .LBB9_71
; %bb.66:                               ;   in Loop: Header=BB9_9 Depth=1
	v_mov_b32_e32 v0, 0
	s_and_not1_b32 vcc_lo, exec_lo, s80
	s_cbranch_vccnz .LBB9_75
; %bb.67:                               ;   in Loop: Header=BB9_9 Depth=1
	s_and_not1_b32 vcc_lo, exec_lo, s83
	s_mov_b32 s0, 0
	s_cbranch_vccnz .LBB9_72
; %bb.68:                               ;   in Loop: Header=BB9_9 Depth=1
	v_mov_b32_e32 v0, 0
	v_mov_b32_e32 v6, v5
	s_mov_b32 s76, 0
	s_mov_b64 s[0:1], s[20:21]
	s_mov_b64 s[2:3], s[26:27]
.LBB9_69:                               ;   Parent Loop BB9_9 Depth=1
                                        ; =>  This Inner Loop Header: Depth=2
	s_clause 0x1
	s_load_b256 s[88:95], s[0:1], 0x4
	s_load_b128 s[96:99], s[0:1], 0x24
	s_load_b128 s[100:103], s[2:3], 0x0
	s_add_u32 s0, s0, 48
	s_addc_u32 s1, s1, 0
	s_add_i32 s76, s76, 4
	s_add_u32 s2, s2, 16
	s_addc_u32 s3, s3, 0
	s_cmp_eq_u32 s84, s76
	s_waitcnt lgkmcnt(0)
	v_mul_hi_u32 v7, s89, v6
	s_delay_alu instid0(VALU_DEP_1) | instskip(NEXT) | instid1(VALU_DEP_1)
	v_add_nc_u32_e32 v7, v6, v7
	v_lshrrev_b32_e32 v7, s90, v7
	s_delay_alu instid0(VALU_DEP_1) | instskip(SKIP_1) | instid1(VALU_DEP_2)
	v_mul_hi_u32 v8, s92, v7
	v_mul_lo_u32 v16, v7, s88
	v_add_nc_u32_e32 v8, v7, v8
	s_delay_alu instid0(VALU_DEP_2) | instskip(NEXT) | instid1(VALU_DEP_2)
	v_sub_nc_u32_e32 v16, v6, v16
	v_lshrrev_b32_e32 v8, s93, v8
	s_delay_alu instid0(VALU_DEP_2) | instskip(NEXT) | instid1(VALU_DEP_2)
	v_mul_lo_u32 v16, v16, s100
	v_mul_hi_u32 v9, s95, v8
	v_mul_lo_u32 v17, v8, s91
	s_delay_alu instid0(VALU_DEP_2) | instskip(NEXT) | instid1(VALU_DEP_2)
	v_add_nc_u32_e32 v9, v8, v9
	v_sub_nc_u32_e32 v7, v7, v17
	s_delay_alu instid0(VALU_DEP_2) | instskip(NEXT) | instid1(VALU_DEP_2)
	v_lshrrev_b32_e32 v9, s96, v9
	v_mul_lo_u32 v7, v7, s101
	s_delay_alu instid0(VALU_DEP_2) | instskip(NEXT) | instid1(VALU_DEP_2)
	v_mul_hi_u32 v15, s98, v9
	v_add3_u32 v0, v16, v0, v7
	s_delay_alu instid0(VALU_DEP_2) | instskip(NEXT) | instid1(VALU_DEP_1)
	v_add_nc_u32_e32 v15, v9, v15
	v_lshrrev_b32_e32 v6, s99, v15
	v_mul_lo_u32 v15, v9, s94
	s_delay_alu instid0(VALU_DEP_2) | instskip(NEXT) | instid1(VALU_DEP_2)
	v_mul_lo_u32 v18, v6, s97
	v_sub_nc_u32_e32 v8, v8, v15
	s_delay_alu instid0(VALU_DEP_2) | instskip(NEXT) | instid1(VALU_DEP_2)
	v_sub_nc_u32_e32 v9, v9, v18
	v_mul_lo_u32 v8, v8, s102
	s_delay_alu instid0(VALU_DEP_2) | instskip(NEXT) | instid1(VALU_DEP_1)
	v_mul_lo_u32 v9, v9, s103
	v_add3_u32 v0, v8, v0, v9
	s_cbranch_scc0 .LBB9_69
; %bb.70:                               ;   in Loop: Header=BB9_9 Depth=1
	s_mov_b32 s0, s84
	s_and_not1_b32 vcc_lo, exec_lo, s86
	s_cbranch_vccz .LBB9_73
	s_branch .LBB9_75
.LBB9_71:                               ;   in Loop: Header=BB9_9 Depth=1
                                        ; implicit-def: $vgpr0
	s_branch .LBB9_76
.LBB9_72:                               ;   in Loop: Header=BB9_9 Depth=1
	v_mov_b32_e32 v6, v5
	s_and_not1_b32 vcc_lo, exec_lo, s86
	s_cbranch_vccnz .LBB9_75
.LBB9_73:                               ;   in Loop: Header=BB9_9 Depth=1
	s_lshl_b32 s1, s0, 2
	s_mul_i32 s2, s0, 12
	s_add_u32 s0, s26, s1
	s_addc_u32 s1, s27, 0
	s_add_u32 s2, s20, s2
	s_addc_u32 s3, s21, 0
	s_mov_b32 s76, s82
	.p2align	6
.LBB9_74:                               ;   Parent Loop BB9_9 Depth=1
                                        ; =>  This Inner Loop Header: Depth=2
	s_clause 0x1
	s_load_b64 s[88:89], s[2:3], 0x4
	s_load_b32 s77, s[2:3], 0xc
	s_load_b32 s87, s[0:1], 0x0
	s_add_u32 s2, s2, 12
	s_addc_u32 s3, s3, 0
	s_add_u32 s0, s0, 4
	s_addc_u32 s1, s1, 0
	s_add_i32 s76, s76, -1
	s_delay_alu instid0(SALU_CYCLE_1) | instskip(SKIP_2) | instid1(VALU_DEP_1)
	s_cmp_lg_u32 s76, 0
	s_waitcnt lgkmcnt(0)
	v_mul_hi_u32 v7, s89, v6
	v_add_nc_u32_e32 v7, v6, v7
	s_delay_alu instid0(VALU_DEP_1) | instskip(NEXT) | instid1(VALU_DEP_1)
	v_lshrrev_b32_e32 v9, s77, v7
	v_mul_lo_u32 v7, v9, s88
	s_delay_alu instid0(VALU_DEP_1) | instskip(NEXT) | instid1(VALU_DEP_1)
	v_sub_nc_u32_e32 v6, v6, v7
	v_mad_u64_u32 v[7:8], null, v6, s87, v[0:1]
	v_mov_b32_e32 v6, v9
	s_delay_alu instid0(VALU_DEP_2)
	v_mov_b32_e32 v0, v7
	s_cbranch_scc1 .LBB9_74
.LBB9_75:                               ;   in Loop: Header=BB9_9 Depth=1
	s_cbranch_execnz .LBB9_7
.LBB9_76:                               ;   in Loop: Header=BB9_9 Depth=1
	v_mul_hi_u32 v0, v5, s6
	s_and_not1_b32 vcc_lo, exec_lo, s9
	s_delay_alu instid0(VALU_DEP_1) | instskip(NEXT) | instid1(VALU_DEP_1)
	v_add_nc_u32_e32 v0, v0, v5
	v_lshrrev_b32_e32 v6, s7, v0
	s_delay_alu instid0(VALU_DEP_1) | instskip(NEXT) | instid1(VALU_DEP_1)
	v_mul_lo_u32 v0, v6, s5
	v_sub_nc_u32_e32 v0, v5, v0
	s_delay_alu instid0(VALU_DEP_1)
	v_mul_lo_u32 v0, v0, s22
	s_cbranch_vccnz .LBB9_7
; %bb.77:                               ;   in Loop: Header=BB9_9 Depth=1
	v_mul_hi_u32 v5, s4, v6
	s_delay_alu instid0(VALU_DEP_1) | instskip(NEXT) | instid1(VALU_DEP_1)
	v_add_nc_u32_e32 v5, v6, v5
	v_lshrrev_b32_e32 v5, s10, v5
	s_delay_alu instid0(VALU_DEP_1) | instskip(NEXT) | instid1(VALU_DEP_1)
	v_mul_lo_u32 v5, v5, s8
	v_sub_nc_u32_e32 v7, v6, v5
	s_delay_alu instid0(VALU_DEP_1) | instskip(NEXT) | instid1(VALU_DEP_1)
	v_mad_u64_u32 v[5:6], null, v7, s23, v[0:1]
	v_mov_b32_e32 v0, v5
	s_branch .LBB9_7
.LBB9_78:
	s_endpgm
.LBB9_79:
                                        ; implicit-def: $sgpr2_sgpr3
	s_branch .LBB9_4
	.section	.rodata,"a",@progbits
	.p2align	6, 0x0
	.amdhsa_kernel _ZN2at6native12_GLOBAL__N_143distribution_elementwise_grid_stride_kernelIfLi4EZNS0_9templates4cuda20normal_and_transformIN3c104HalfEfPNS_17CUDAGeneratorImplEZZZNS4_17log_normal_kernelIS9_EEvRNS_18TensorIteratorBaseEddT_ENKUlvE_clEvENKUlvE1_clEvEUlfE_EEvSC_T1_T2_EUlP25hiprandStatePhilox4_32_10E_ZNS1_27distribution_nullary_kernelIS7_f15HIP_vector_typeIdLj2EES9_SL_SG_EEvSC_SI_RKT3_T4_EUlifE0_EEvlNS_15PhiloxCudaStateESH_SI_
		.amdhsa_group_segment_fixed_size 0
		.amdhsa_private_segment_fixed_size 0
		.amdhsa_kernarg_size 584
		.amdhsa_user_sgpr_count 15
		.amdhsa_user_sgpr_dispatch_ptr 0
		.amdhsa_user_sgpr_queue_ptr 0
		.amdhsa_user_sgpr_kernarg_segment_ptr 1
		.amdhsa_user_sgpr_dispatch_id 0
		.amdhsa_user_sgpr_private_segment_size 0
		.amdhsa_wavefront_size32 1
		.amdhsa_uses_dynamic_stack 0
		.amdhsa_enable_private_segment 0
		.amdhsa_system_sgpr_workgroup_id_x 1
		.amdhsa_system_sgpr_workgroup_id_y 0
		.amdhsa_system_sgpr_workgroup_id_z 0
		.amdhsa_system_sgpr_workgroup_info 0
		.amdhsa_system_vgpr_workitem_id 0
		.amdhsa_next_free_vgpr 58
		.amdhsa_next_free_sgpr 104
		.amdhsa_reserve_vcc 1
		.amdhsa_float_round_mode_32 0
		.amdhsa_float_round_mode_16_64 0
		.amdhsa_float_denorm_mode_32 3
		.amdhsa_float_denorm_mode_16_64 3
		.amdhsa_dx10_clamp 1
		.amdhsa_ieee_mode 1
		.amdhsa_fp16_overflow 0
		.amdhsa_workgroup_processor_mode 1
		.amdhsa_memory_ordered 1
		.amdhsa_forward_progress 0
		.amdhsa_shared_vgpr_count 0
		.amdhsa_exception_fp_ieee_invalid_op 0
		.amdhsa_exception_fp_denorm_src 0
		.amdhsa_exception_fp_ieee_div_zero 0
		.amdhsa_exception_fp_ieee_overflow 0
		.amdhsa_exception_fp_ieee_underflow 0
		.amdhsa_exception_fp_ieee_inexact 0
		.amdhsa_exception_int_div_zero 0
	.end_amdhsa_kernel
	.section	.text._ZN2at6native12_GLOBAL__N_143distribution_elementwise_grid_stride_kernelIfLi4EZNS0_9templates4cuda20normal_and_transformIN3c104HalfEfPNS_17CUDAGeneratorImplEZZZNS4_17log_normal_kernelIS9_EEvRNS_18TensorIteratorBaseEddT_ENKUlvE_clEvENKUlvE1_clEvEUlfE_EEvSC_T1_T2_EUlP25hiprandStatePhilox4_32_10E_ZNS1_27distribution_nullary_kernelIS7_f15HIP_vector_typeIdLj2EES9_SL_SG_EEvSC_SI_RKT3_T4_EUlifE0_EEvlNS_15PhiloxCudaStateESH_SI_,"axG",@progbits,_ZN2at6native12_GLOBAL__N_143distribution_elementwise_grid_stride_kernelIfLi4EZNS0_9templates4cuda20normal_and_transformIN3c104HalfEfPNS_17CUDAGeneratorImplEZZZNS4_17log_normal_kernelIS9_EEvRNS_18TensorIteratorBaseEddT_ENKUlvE_clEvENKUlvE1_clEvEUlfE_EEvSC_T1_T2_EUlP25hiprandStatePhilox4_32_10E_ZNS1_27distribution_nullary_kernelIS7_f15HIP_vector_typeIdLj2EES9_SL_SG_EEvSC_SI_RKT3_T4_EUlifE0_EEvlNS_15PhiloxCudaStateESH_SI_,comdat
.Lfunc_end9:
	.size	_ZN2at6native12_GLOBAL__N_143distribution_elementwise_grid_stride_kernelIfLi4EZNS0_9templates4cuda20normal_and_transformIN3c104HalfEfPNS_17CUDAGeneratorImplEZZZNS4_17log_normal_kernelIS9_EEvRNS_18TensorIteratorBaseEddT_ENKUlvE_clEvENKUlvE1_clEvEUlfE_EEvSC_T1_T2_EUlP25hiprandStatePhilox4_32_10E_ZNS1_27distribution_nullary_kernelIS7_f15HIP_vector_typeIdLj2EES9_SL_SG_EEvSC_SI_RKT3_T4_EUlifE0_EEvlNS_15PhiloxCudaStateESH_SI_, .Lfunc_end9-_ZN2at6native12_GLOBAL__N_143distribution_elementwise_grid_stride_kernelIfLi4EZNS0_9templates4cuda20normal_and_transformIN3c104HalfEfPNS_17CUDAGeneratorImplEZZZNS4_17log_normal_kernelIS9_EEvRNS_18TensorIteratorBaseEddT_ENKUlvE_clEvENKUlvE1_clEvEUlfE_EEvSC_T1_T2_EUlP25hiprandStatePhilox4_32_10E_ZNS1_27distribution_nullary_kernelIS7_f15HIP_vector_typeIdLj2EES9_SL_SG_EEvSC_SI_RKT3_T4_EUlifE0_EEvlNS_15PhiloxCudaStateESH_SI_
                                        ; -- End function
	.section	.AMDGPU.csdata,"",@progbits
; Kernel info:
; codeLenInByte = 7292
; NumSgprs: 106
; NumVgprs: 58
; ScratchSize: 0
; MemoryBound: 0
; FloatMode: 240
; IeeeMode: 1
; LDSByteSize: 0 bytes/workgroup (compile time only)
; SGPRBlocks: 13
; VGPRBlocks: 7
; NumSGPRsForWavesPerEU: 106
; NumVGPRsForWavesPerEU: 58
; Occupancy: 16
; WaveLimiterHint : 1
; COMPUTE_PGM_RSRC2:SCRATCH_EN: 0
; COMPUTE_PGM_RSRC2:USER_SGPR: 15
; COMPUTE_PGM_RSRC2:TRAP_HANDLER: 0
; COMPUTE_PGM_RSRC2:TGID_X_EN: 1
; COMPUTE_PGM_RSRC2:TGID_Y_EN: 0
; COMPUTE_PGM_RSRC2:TGID_Z_EN: 0
; COMPUTE_PGM_RSRC2:TIDIG_COMP_CNT: 0
	.section	.text._ZN2at6native12_GLOBAL__N_143distribution_elementwise_grid_stride_kernelIfLi4EZNS0_9templates4cuda20normal_and_transformIN3c104HalfEfPNS_17CUDAGeneratorImplEZZZNS4_17log_normal_kernelIS9_EEvRNS_18TensorIteratorBaseEddT_ENKUlvE_clEvENKUlvE1_clEvEUlfE_EEvSC_T1_T2_EUlP25hiprandStatePhilox4_32_10E0_ZNS1_27distribution_nullary_kernelIS7_f15HIP_vector_typeIfLj4EES9_SL_SG_EEvSC_SI_RKT3_T4_EUlifE_EEvlNS_15PhiloxCudaStateESH_SI_,"axG",@progbits,_ZN2at6native12_GLOBAL__N_143distribution_elementwise_grid_stride_kernelIfLi4EZNS0_9templates4cuda20normal_and_transformIN3c104HalfEfPNS_17CUDAGeneratorImplEZZZNS4_17log_normal_kernelIS9_EEvRNS_18TensorIteratorBaseEddT_ENKUlvE_clEvENKUlvE1_clEvEUlfE_EEvSC_T1_T2_EUlP25hiprandStatePhilox4_32_10E0_ZNS1_27distribution_nullary_kernelIS7_f15HIP_vector_typeIfLj4EES9_SL_SG_EEvSC_SI_RKT3_T4_EUlifE_EEvlNS_15PhiloxCudaStateESH_SI_,comdat
	.globl	_ZN2at6native12_GLOBAL__N_143distribution_elementwise_grid_stride_kernelIfLi4EZNS0_9templates4cuda20normal_and_transformIN3c104HalfEfPNS_17CUDAGeneratorImplEZZZNS4_17log_normal_kernelIS9_EEvRNS_18TensorIteratorBaseEddT_ENKUlvE_clEvENKUlvE1_clEvEUlfE_EEvSC_T1_T2_EUlP25hiprandStatePhilox4_32_10E0_ZNS1_27distribution_nullary_kernelIS7_f15HIP_vector_typeIfLj4EES9_SL_SG_EEvSC_SI_RKT3_T4_EUlifE_EEvlNS_15PhiloxCudaStateESH_SI_ ; -- Begin function _ZN2at6native12_GLOBAL__N_143distribution_elementwise_grid_stride_kernelIfLi4EZNS0_9templates4cuda20normal_and_transformIN3c104HalfEfPNS_17CUDAGeneratorImplEZZZNS4_17log_normal_kernelIS9_EEvRNS_18TensorIteratorBaseEddT_ENKUlvE_clEvENKUlvE1_clEvEUlfE_EEvSC_T1_T2_EUlP25hiprandStatePhilox4_32_10E0_ZNS1_27distribution_nullary_kernelIS7_f15HIP_vector_typeIfLj4EES9_SL_SG_EEvSC_SI_RKT3_T4_EUlifE_EEvlNS_15PhiloxCudaStateESH_SI_
	.p2align	8
	.type	_ZN2at6native12_GLOBAL__N_143distribution_elementwise_grid_stride_kernelIfLi4EZNS0_9templates4cuda20normal_and_transformIN3c104HalfEfPNS_17CUDAGeneratorImplEZZZNS4_17log_normal_kernelIS9_EEvRNS_18TensorIteratorBaseEddT_ENKUlvE_clEvENKUlvE1_clEvEUlfE_EEvSC_T1_T2_EUlP25hiprandStatePhilox4_32_10E0_ZNS1_27distribution_nullary_kernelIS7_f15HIP_vector_typeIfLj4EES9_SL_SG_EEvSC_SI_RKT3_T4_EUlifE_EEvlNS_15PhiloxCudaStateESH_SI_,@function
_ZN2at6native12_GLOBAL__N_143distribution_elementwise_grid_stride_kernelIfLi4EZNS0_9templates4cuda20normal_and_transformIN3c104HalfEfPNS_17CUDAGeneratorImplEZZZNS4_17log_normal_kernelIS9_EEvRNS_18TensorIteratorBaseEddT_ENKUlvE_clEvENKUlvE1_clEvEUlfE_EEvSC_T1_T2_EUlP25hiprandStatePhilox4_32_10E0_ZNS1_27distribution_nullary_kernelIS7_f15HIP_vector_typeIfLj4EES9_SL_SG_EEvSC_SI_RKT3_T4_EUlifE_EEvlNS_15PhiloxCudaStateESH_SI_: ; @_ZN2at6native12_GLOBAL__N_143distribution_elementwise_grid_stride_kernelIfLi4EZNS0_9templates4cuda20normal_and_transformIN3c104HalfEfPNS_17CUDAGeneratorImplEZZZNS4_17log_normal_kernelIS9_EEvRNS_18TensorIteratorBaseEddT_ENKUlvE_clEvENKUlvE1_clEvEUlfE_EEvSC_T1_T2_EUlP25hiprandStatePhilox4_32_10E0_ZNS1_27distribution_nullary_kernelIS7_f15HIP_vector_typeIfLj4EES9_SL_SG_EEvSC_SI_RKT3_T4_EUlifE_EEvlNS_15PhiloxCudaStateESH_SI_
; %bb.0:
	s_clause 0x2
	s_load_b64 s[8:9], s[0:1], 0x10
	s_load_b128 s[4:7], s[0:1], 0x0
	s_load_b32 s2, s[0:1], 0x20
	s_waitcnt lgkmcnt(0)
	v_dual_mov_b32 v2, s8 :: v_dual_mov_b32 v3, s9
	v_dual_mov_b32 v9, s7 :: v_dual_mov_b32 v8, s6
	s_bitcmp0_b32 s2, 0
	s_mov_b32 s2, 0
	s_cbranch_scc1 .LBB10_2
; %bb.1:
	v_dual_mov_b32 v1, s8 :: v_dual_mov_b32 v2, s9
	v_dual_mov_b32 v4, s6 :: v_dual_mov_b32 v5, s7
	s_load_b64 s[6:7], s[0:1], 0x18
	flat_load_b64 v[2:3], v[1:2]
	flat_load_b64 v[8:9], v[4:5]
	s_waitcnt vmcnt(1) lgkmcnt(0)
	v_add_co_u32 v2, vcc_lo, v2, s6
	v_add_co_ci_u32_e32 v3, vcc_lo, s7, v3, vcc_lo
.LBB10_2:
	s_clause 0x1
	s_load_b32 s3, s[0:1], 0x54
	s_load_b32 s16, s[0:1], 0x48
	s_waitcnt lgkmcnt(0)
	s_and_b32 s14, s3, 0xffff
	s_add_u32 s6, s4, -1
	s_mul_i32 s12, s16, s14
	s_addc_u32 s3, s5, -1
	s_lshl_b32 s13, s12, 2
	s_cmp_lg_u64 s[2:3], 0
	s_cbranch_scc0 .LBB10_27
; %bb.3:
	v_cvt_f32_ubyte0_e32 v1, 0
	v_cvt_f32_u32_e32 v4, s13
	s_sub_u32 s8, 0, s13
	s_subb_u32 s9, 0, 0
	s_delay_alu instid0(VALU_DEP_1) | instskip(NEXT) | instid1(VALU_DEP_1)
	v_fmamk_f32 v1, v1, 0x4f800000, v4
	v_rcp_f32_e32 v1, v1
	s_waitcnt_depctr 0xfff
	v_mul_f32_e32 v1, 0x5f7ffffc, v1
	s_delay_alu instid0(VALU_DEP_1) | instskip(NEXT) | instid1(VALU_DEP_1)
	v_mul_f32_e32 v4, 0x2f800000, v1
	v_trunc_f32_e32 v4, v4
	s_delay_alu instid0(VALU_DEP_1) | instskip(SKIP_1) | instid1(VALU_DEP_2)
	v_fmamk_f32 v1, v4, 0xcf800000, v1
	v_cvt_u32_f32_e32 v4, v4
	v_cvt_u32_f32_e32 v1, v1
	s_delay_alu instid0(VALU_DEP_2) | instskip(NEXT) | instid1(VALU_DEP_2)
	v_readfirstlane_b32 s2, v4
	v_readfirstlane_b32 s7, v1
	s_delay_alu instid0(VALU_DEP_2) | instskip(NEXT) | instid1(VALU_DEP_1)
	s_mul_i32 s10, s8, s2
	s_mul_hi_u32 s17, s8, s7
	s_mul_i32 s11, s9, s7
	s_add_i32 s10, s17, s10
	s_mul_i32 s18, s8, s7
	s_add_i32 s10, s10, s11
	s_mul_hi_u32 s17, s7, s18
	s_mul_hi_u32 s19, s2, s18
	s_mul_i32 s11, s2, s18
	s_mul_hi_u32 s18, s7, s10
	s_mul_i32 s7, s7, s10
	s_mul_hi_u32 s20, s2, s10
	s_add_u32 s7, s17, s7
	s_addc_u32 s17, 0, s18
	s_add_u32 s7, s7, s11
	s_mul_i32 s10, s2, s10
	s_addc_u32 s7, s17, s19
	s_addc_u32 s11, s20, 0
	s_add_u32 s7, s7, s10
	s_addc_u32 s10, 0, s11
	v_add_co_u32 v1, s7, v1, s7
	s_delay_alu instid0(VALU_DEP_1) | instskip(SKIP_1) | instid1(VALU_DEP_1)
	s_cmp_lg_u32 s7, 0
	s_addc_u32 s2, s2, s10
	v_readfirstlane_b32 s7, v1
	s_mul_i32 s10, s8, s2
	s_delay_alu instid0(VALU_DEP_1)
	s_mul_hi_u32 s11, s8, s7
	s_mul_i32 s9, s9, s7
	s_add_i32 s10, s11, s10
	s_mul_i32 s8, s8, s7
	s_add_i32 s10, s10, s9
	s_mul_hi_u32 s11, s2, s8
	s_mul_i32 s17, s2, s8
	s_mul_hi_u32 s8, s7, s8
	s_mul_hi_u32 s18, s7, s10
	s_mul_i32 s7, s7, s10
	s_mul_hi_u32 s9, s2, s10
	s_add_u32 s7, s8, s7
	s_addc_u32 s8, 0, s18
	s_add_u32 s7, s7, s17
	s_mul_i32 s10, s2, s10
	s_addc_u32 s7, s8, s11
	s_addc_u32 s8, s9, 0
	s_add_u32 s7, s7, s10
	s_addc_u32 s8, 0, s8
	v_add_co_u32 v1, s7, v1, s7
	s_delay_alu instid0(VALU_DEP_1) | instskip(SKIP_2) | instid1(VALU_DEP_1)
	s_cmp_lg_u32 s7, 0
	s_addc_u32 s7, s2, s8
	s_ashr_i32 s8, s3, 31
	v_readfirstlane_b32 s10, v1
	s_add_u32 s2, s6, s8
	s_mov_b32 s9, s8
	s_addc_u32 s3, s3, s8
	s_delay_alu instid0(SALU_CYCLE_1) | instskip(NEXT) | instid1(SALU_CYCLE_1)
	s_xor_b64 s[2:3], s[2:3], s[8:9]
	s_mul_i32 s17, s2, s7
	s_mul_hi_u32 s18, s2, s10
	s_mul_hi_u32 s11, s2, s7
	;; [unrolled: 1-line block ×3, first 2 shown]
	s_mul_i32 s10, s3, s10
	s_add_u32 s17, s18, s17
	s_addc_u32 s11, 0, s11
	s_mul_hi_u32 s19, s3, s7
	s_add_u32 s10, s17, s10
	s_mul_i32 s7, s3, s7
	s_addc_u32 s10, s11, s20
	s_addc_u32 s11, s19, 0
	s_add_u32 s7, s10, s7
	s_addc_u32 s10, 0, s11
	s_mul_i32 s17, s13, s7
	s_add_u32 s11, s7, 1
	v_sub_co_u32 v1, s2, s2, s17
	s_mul_hi_u32 s17, s13, s7
	s_addc_u32 s18, s10, 0
	s_mul_i32 s19, s13, s10
	s_delay_alu instid0(VALU_DEP_1)
	v_sub_co_u32 v4, s20, v1, s13
	s_add_u32 s21, s7, 2
	s_addc_u32 s22, s10, 0
	s_add_i32 s17, s17, s19
	s_cmp_lg_u32 s2, 0
	v_readfirstlane_b32 s2, v4
	s_subb_u32 s3, s3, s17
	s_cmp_lg_u32 s20, 0
	s_subb_u32 s17, s3, 0
	s_delay_alu instid0(VALU_DEP_1) | instskip(SKIP_4) | instid1(SALU_CYCLE_1)
	s_cmp_ge_u32 s2, s13
	s_cselect_b32 s2, -1, 0
	s_cmp_eq_u32 s17, 0
	v_readfirstlane_b32 s17, v1
	s_cselect_b32 s2, s2, -1
	s_cmp_lg_u32 s2, 0
	s_cselect_b32 s2, s21, s11
	s_cselect_b32 s11, s22, s18
	s_cmp_ge_u32 s17, s13
	s_cselect_b32 s17, -1, 0
	s_cmp_eq_u32 s3, 0
	s_cselect_b32 s3, s17, -1
	s_delay_alu instid0(SALU_CYCLE_1) | instskip(SKIP_2) | instid1(SALU_CYCLE_1)
	s_cmp_lg_u32 s3, 0
	s_cselect_b32 s3, s11, s10
	s_cselect_b32 s2, s2, s7
	s_xor_b64 s[2:3], s[2:3], s[8:9]
	s_delay_alu instid0(SALU_CYCLE_1)
	s_sub_u32 s2, s2, s8
	s_subb_u32 s3, s3, s8
	s_cbranch_execnz .LBB10_5
.LBB10_4:
	v_cvt_f32_u32_e32 v1, s13
	s_sub_i32 s3, 0, s13
	s_delay_alu instid0(VALU_DEP_1) | instskip(SKIP_2) | instid1(VALU_DEP_1)
	v_rcp_iflag_f32_e32 v1, v1
	s_waitcnt_depctr 0xfff
	v_mul_f32_e32 v1, 0x4f7ffffe, v1
	v_cvt_u32_f32_e32 v1, v1
	s_delay_alu instid0(VALU_DEP_1) | instskip(NEXT) | instid1(VALU_DEP_1)
	v_readfirstlane_b32 s2, v1
	s_mul_i32 s3, s3, s2
	s_delay_alu instid0(SALU_CYCLE_1) | instskip(NEXT) | instid1(SALU_CYCLE_1)
	s_mul_hi_u32 s3, s2, s3
	s_add_i32 s2, s2, s3
	s_delay_alu instid0(SALU_CYCLE_1) | instskip(NEXT) | instid1(SALU_CYCLE_1)
	s_mul_hi_u32 s2, s6, s2
	s_mul_i32 s3, s2, s13
	s_delay_alu instid0(SALU_CYCLE_1)
	s_sub_i32 s3, s6, s3
	s_add_i32 s6, s2, 1
	s_sub_i32 s7, s3, s13
	s_cmp_ge_u32 s3, s13
	s_cselect_b32 s2, s6, s2
	s_cselect_b32 s3, s7, s3
	s_add_i32 s6, s2, 1
	s_cmp_ge_u32 s3, s13
	s_mov_b32 s3, 0
	s_cselect_b32 s2, s6, s2
.LBB10_5:
	v_mov_b32_e32 v1, 0
	s_add_u32 s2, s2, 1
	s_addc_u32 s3, s3, 0
	s_mul_hi_u32 s6, s12, s2
	s_mul_i32 s3, s12, s3
	v_mad_u64_u32 v[10:11], null, s14, s15, v[0:1]
	s_mul_hi_u32 s7, s16, s14
	s_add_i32 s3, s6, s3
	s_mul_i32 s7, s7, s2
	s_mul_i32 s2, s12, s2
	s_add_i32 s3, s3, s7
	s_mov_b32 s6, exec_lo
	s_lshl_b64 s[2:3], s[2:3], 2
	s_delay_alu instid0(SALU_CYCLE_1)
	v_cmpx_gt_i64_e64 s[2:3], v[10:11]
	s_cbranch_execz .LBB10_26
; %bb.6:
	v_alignbit_b32 v14, v3, v2, 2
	v_mad_u64_u32 v[6:7], null, 0xcd9e8d57, v10, 0
	v_lshrrev_b32_e32 v15, 2, v3
	s_waitcnt vmcnt(0)
	v_dual_mov_b32 v35, v9 :: v_dual_and_b32 v26, 3, v2
	v_mad_u64_u32 v[4:5], null, 0xd2511f53, v14, 0
	v_add_co_u32 v17, null, 0x9e3779b9, v8
	v_xor3_b32 v3, v8, v7, v15
	s_delay_alu instid0(VALU_DEP_4) | instskip(SKIP_2) | instid1(VALU_DEP_4)
	v_add_co_u32 v16, null, 0xbb67ae85, v35
	v_add_co_u32 v18, null, 0x3c6ef372, v8
	v_xor_b32_e32 v1, v5, v9
	v_mad_u64_u32 v[12:13], null, 0xd2511f53, v3, 0
	v_add_co_u32 v19, null, 0x76cf5d0a, v35
	s_delay_alu instid0(VALU_DEP_3) | instskip(SKIP_2) | instid1(VALU_DEP_3)
	v_xor_b32_e32 v1, v1, v11
	v_add_co_u32 v22, null, 0x78dde6e4, v8
	v_add_co_u32 v23, null, 0xed9eba14, v35
	v_mad_u64_u32 v[20:21], null, 0xcd9e8d57, v1, 0
	v_xor3_b32 v1, v16, v13, v4
	v_add_co_u32 v24, null, 0xa9066899, v35
	v_add_co_u32 v25, null, 0x1715609d, v8
	s_delay_alu instid0(VALU_DEP_3) | instskip(SKIP_3) | instid1(VALU_DEP_3)
	v_mad_u64_u32 v[3:4], null, 0xcd9e8d57, v1, 0
	v_xor3_b32 v7, v17, v21, v6
	v_add_co_u32 v21, null, 0xdaa66d2b, v8
	v_add_co_u32 v31, null, 0x646e171e, v35
	v_mad_u64_u32 v[5:6], null, 0xd2511f53, v7, 0
	v_xor3_b32 v1, v18, v4, v20
	v_add_co_u32 v20, null, 0x32370b8f, v35
	v_add_co_u32 v33, null, 0x1fd5c5a3, v35
	s_clause 0x1
	s_load_b128 s[8:11], s[0:1], 0x38
	s_load_b64 s[6:7], s[0:1], 0x30
	s_delay_alu instid0(VALU_DEP_4) | instskip(SKIP_2) | instid1(VALU_DEP_3)
	v_xor3_b32 v4, v19, v6, v12
	v_mad_u64_u32 v[6:7], null, 0xd2511f53, v1, 0
	v_add_co_u32 v32, null, 0xf1bbcdc8, v8
	v_mad_u64_u32 v[12:13], null, 0xcd9e8d57, v4, 0
	v_add_co_u32 v35, null, 0xdb3d7428, v35
	s_delay_alu instid0(VALU_DEP_4) | instskip(SKIP_3) | instid1(VALU_DEP_3)
	v_xor3_b32 v1, v20, v7, v5
	s_add_i32 s18, s15, s16
	s_mul_i32 s0, s16, 3
	s_lshl_b32 s17, s16, 1
	v_xor3_b32 v5, v21, v13, v3
	v_mad_u64_u32 v[3:4], null, 0xcd9e8d57, v1, 0
	s_add_i32 s0, s15, s0
	v_dual_mov_b32 v34, v10 :: v_dual_add_nc_u32 v27, 0x8ff34781, v8
	s_delay_alu instid0(VALU_DEP_3) | instskip(SKIP_1) | instid1(VALU_DEP_4)
	v_mad_u64_u32 v[29:30], null, 0xd2511f53, v5, 0
	v_add_nc_u32_e32 v28, 0x96a522ad, v9
	v_xor3_b32 v1, v22, v4, v12
	s_mov_b32 s1, 0
	s_waitcnt lgkmcnt(0)
	s_lshl_b32 s11, s12, 1
	s_delay_alu instid0(VALU_DEP_3) | instskip(SKIP_2) | instid1(VALU_DEP_3)
	v_xor3_b32 v12, v23, v30, v6
	v_mad_u64_u32 v[4:5], null, 0xd2511f53, v1, 0
	v_add_co_u32 v30, null, 0xb54cda56, v8
	v_mad_u64_u32 v[6:7], null, 0xcd9e8d57, v12, 0
	s_delay_alu instid0(VALU_DEP_3) | instskip(SKIP_1) | instid1(VALU_DEP_3)
	v_xor3_b32 v5, v24, v5, v29
	v_add_co_u32 v29, null, 0x5384540f, v8
	v_xor3_b32 v3, v25, v7, v3
	s_delay_alu instid0(VALU_DEP_3) | instskip(NEXT) | instid1(VALU_DEP_2)
	v_mad_u64_u32 v[1:2], null, 0xcd9e8d57, v5, 0
	v_mad_u64_u32 v[12:13], null, 0xd2511f53, v3, 0
	s_delay_alu instid0(VALU_DEP_2) | instskip(NEXT) | instid1(VALU_DEP_3)
	v_xor3_b32 v5, v30, v2, v6
	v_mad_u64_u32 v[2:3], null, s15, s14, v[0:1]
	s_add_i32 s15, s15, s17
	s_delay_alu instid0(VALU_DEP_3) | instskip(NEXT) | instid1(VALU_DEP_3)
	v_xor3_b32 v7, v31, v13, v4
	v_mad_u64_u32 v[3:4], null, 0xd2511f53, v5, 0
	s_delay_alu instid0(VALU_DEP_2) | instskip(NEXT) | instid1(VALU_DEP_4)
	v_mad_u64_u32 v[5:6], null, 0xcd9e8d57, v7, 0
	v_mul_lo_u32 v36, s8, v2
	s_delay_alu instid0(VALU_DEP_3) | instskip(NEXT) | instid1(VALU_DEP_3)
	v_xor3_b32 v4, v33, v4, v12
	v_xor3_b32 v1, v29, v6, v1
	s_delay_alu instid0(VALU_DEP_2) | instskip(NEXT) | instid1(VALU_DEP_2)
	v_mad_u64_u32 v[12:13], null, 0xcd9e8d57, v4, 0
	v_mad_u64_u32 v[40:41], null, 0xd2511f53, v1, 0
	v_mad_u64_u32 v[6:7], null, s18, s14, v[0:1]
	s_delay_alu instid0(VALU_DEP_3) | instskip(SKIP_2) | instid1(VALU_DEP_4)
	v_xor3_b32 v5, v32, v13, v5
	v_mad_u64_u32 v[37:38], null, s0, s14, v[0:1]
	s_mul_i32 s0, s16, s8
	v_xor3_b32 v7, v35, v41, v3
	v_mad_u64_u32 v[3:4], null, s15, s14, v[0:1]
	v_mad_u64_u32 v[0:1], null, 0xd2511f53, v5, 0
	s_delay_alu instid0(VALU_DEP_3)
	v_mad_u64_u32 v[4:5], null, 0xcd9e8d57, v7, 0
	v_mul_lo_u32 v37, s8, v37
	v_mul_lo_u32 v39, s8, v6
	;; [unrolled: 1-line block ×3, first 2 shown]
	s_mul_i32 s0, s0, s14
	v_mov_b32_e32 v6, v0
	s_mul_i32 s8, s12, 3
	v_xor3_b32 v3, v5, v12, v27
	v_xor3_b32 v5, v1, v40, v28
	v_mov_b32_e32 v40, v11
	s_lshl_b32 s14, s0, 2
	s_mov_b32 s15, 0
	s_branch .LBB10_8
.LBB10_7:                               ;   in Loop: Header=BB10_8 Depth=1
	s_or_b32 exec_lo, exec_lo, s0
	v_add_co_u32 v10, vcc_lo, v10, s13
	v_add_co_ci_u32_e32 v11, vcc_lo, 0, v11, vcc_lo
	v_mov_b32_e32 v3, v12
	s_add_i32 s15, s15, s14
	s_waitcnt_vscnt null, 0x0
	s_delay_alu instid0(VALU_DEP_2)
	v_cmp_le_i64_e32 vcc_lo, s[2:3], v[10:11]
	s_barrier
	v_mov_b32_e32 v6, v3
	v_dual_mov_b32 v5, v2 :: v_dual_mov_b32 v4, v1
	v_mov_b32_e32 v3, v0
	s_or_b32 s1, vcc_lo, s1
	buffer_gl0_inv
	s_and_not1_b32 exec_lo, exec_lo, s1
	s_cbranch_execz .LBB10_26
.LBB10_8:                               ; =>This Inner Loop Header: Depth=1
	v_add_co_u32 v14, vcc_lo, v14, 1
	s_delay_alu instid0(VALU_DEP_1) | instskip(SKIP_2) | instid1(VALU_DEP_1)
	v_cndmask_b32_e64 v0, 0, 1, vcc_lo
	v_add_co_ci_u32_e32 v15, vcc_lo, 0, v15, vcc_lo
	s_mov_b32 s0, exec_lo
	v_cmp_eq_u32_e32 vcc_lo, 0, v15
	s_delay_alu instid0(VALU_DEP_3) | instskip(NEXT) | instid1(VALU_DEP_1)
	v_cndmask_b32_e32 v0, 0, v0, vcc_lo
	v_add_nc_u32_e32 v34, v0, v34
	s_delay_alu instid0(VALU_DEP_1) | instskip(SKIP_2) | instid1(VALU_DEP_2)
	v_cmp_eq_u32_e32 vcc_lo, 0, v34
	v_mad_u64_u32 v[12:13], null, 0xcd9e8d57, v34, 0
	v_cndmask_b32_e32 v0, 0, v0, vcc_lo
	v_xor3_b32 v7, v13, v8, v15
	s_delay_alu instid0(VALU_DEP_2) | instskip(SKIP_1) | instid1(VALU_DEP_1)
	v_add_nc_u32_e32 v40, v0, v40
	v_mad_u64_u32 v[0:1], null, 0xd2511f53, v14, 0
	v_xor_b32_e32 v1, v1, v9
	s_delay_alu instid0(VALU_DEP_1) | instskip(SKIP_1) | instid1(VALU_DEP_2)
	v_xor_b32_e32 v13, v40, v1
	v_mad_u64_u32 v[1:2], null, 0xd2511f53, v7, 0
	v_mad_u64_u32 v[41:42], null, 0xcd9e8d57, v13, 0
	s_delay_alu instid0(VALU_DEP_2) | instskip(NEXT) | instid1(VALU_DEP_2)
	v_xor3_b32 v0, v16, v2, v0
	v_xor3_b32 v2, v17, v42, v12
	s_delay_alu instid0(VALU_DEP_2) | instskip(NEXT) | instid1(VALU_DEP_2)
	v_mad_u64_u32 v[12:13], null, 0xcd9e8d57, v0, 0
	v_mad_u64_u32 v[42:43], null, 0xd2511f53, v2, 0
	s_delay_alu instid0(VALU_DEP_2) | instskip(NEXT) | instid1(VALU_DEP_2)
	v_xor3_b32 v2, v18, v13, v41
	v_xor3_b32 v7, v19, v43, v1
	s_delay_alu instid0(VALU_DEP_2) | instskip(NEXT) | instid1(VALU_DEP_2)
	v_mad_u64_u32 v[0:1], null, 0xd2511f53, v2, 0
	v_mad_u64_u32 v[43:44], null, 0xcd9e8d57, v7, 0
	s_delay_alu instid0(VALU_DEP_2) | instskip(NEXT) | instid1(VALU_DEP_2)
	v_xor3_b32 v7, v20, v1, v42
	v_xor3_b32 v41, v21, v44, v12
	s_delay_alu instid0(VALU_DEP_2) | instskip(NEXT) | instid1(VALU_DEP_2)
	v_mad_u64_u32 v[1:2], null, 0xcd9e8d57, v7, 0
	v_mad_u64_u32 v[12:13], null, 0xd2511f53, v41, 0
	s_delay_alu instid0(VALU_DEP_2) | instskip(NEXT) | instid1(VALU_DEP_2)
	v_xor3_b32 v2, v22, v2, v43
	v_xor3_b32 v0, v23, v13, v0
	s_delay_alu instid0(VALU_DEP_2) | instskip(NEXT) | instid1(VALU_DEP_2)
	v_mad_u64_u32 v[41:42], null, 0xd2511f53, v2, 0
	v_mad_u64_u32 v[43:44], null, 0xcd9e8d57, v0, 0
	s_delay_alu instid0(VALU_DEP_2) | instskip(NEXT) | instid1(VALU_DEP_2)
	v_xor3_b32 v2, v24, v42, v12
	v_xor3_b32 v7, v25, v44, v1
	s_delay_alu instid0(VALU_DEP_2) | instskip(NEXT) | instid1(VALU_DEP_2)
	v_mad_u64_u32 v[0:1], null, 0xcd9e8d57, v2, 0
	v_mad_u64_u32 v[12:13], null, 0xd2511f53, v7, 0
	s_delay_alu instid0(VALU_DEP_2) | instskip(NEXT) | instid1(VALU_DEP_2)
	v_xor3_b32 v7, v30, v1, v43
	v_xor3_b32 v13, v31, v13, v41
	s_delay_alu instid0(VALU_DEP_2) | instskip(NEXT) | instid1(VALU_DEP_2)
	v_mad_u64_u32 v[1:2], null, 0xd2511f53, v7, 0
	v_mad_u64_u32 v[41:42], null, 0xcd9e8d57, v13, 0
	s_delay_alu instid0(VALU_DEP_2) | instskip(NEXT) | instid1(VALU_DEP_2)
	v_xor3_b32 v2, v33, v2, v12
	v_xor3_b32 v0, v29, v42, v0
	s_delay_alu instid0(VALU_DEP_2) | instskip(NEXT) | instid1(VALU_DEP_2)
	v_mad_u64_u32 v[42:43], null, 0xcd9e8d57, v2, 0
	v_mad_u64_u32 v[44:45], null, 0xd2511f53, v0, 0
	s_delay_alu instid0(VALU_DEP_2) | instskip(NEXT) | instid1(VALU_DEP_2)
	v_xor3_b32 v0, v32, v43, v41
	v_xor3_b32 v7, v35, v45, v1
	s_delay_alu instid0(VALU_DEP_2) | instskip(NEXT) | instid1(VALU_DEP_2)
	v_mad_u64_u32 v[12:13], null, 0xd2511f53, v0, 0
	v_mad_u64_u32 v[1:2], null, 0xcd9e8d57, v7, 0
	s_delay_alu instid0(VALU_DEP_2) | instskip(NEXT) | instid1(VALU_DEP_2)
	v_xor3_b32 v7, v13, v44, v28
	v_xor3_b32 v0, v2, v42, v27
	s_delay_alu instid0(VALU_DEP_2)
	v_mov_b32_e32 v2, v7
	v_cmpx_lt_i32_e32 1, v26
	s_xor_b32 s0, exec_lo, s0
	s_cbranch_execz .LBB10_14
; %bb.9:                                ;   in Loop: Header=BB10_8 Depth=1
	s_mov_b32 s16, exec_lo
	v_cmpx_lt_i32_e32 2, v26
	s_xor_b32 s16, exec_lo, s16
; %bb.10:                               ;   in Loop: Header=BB10_8 Depth=1
	v_dual_mov_b32 v4, v6 :: v_dual_mov_b32 v5, v0
	v_mov_b32_e32 v6, v1
	s_delay_alu instid0(VALU_DEP_2) | instskip(NEXT) | instid1(VALU_DEP_3)
	v_mov_b32_e32 v3, v4
	v_mov_b32_e32 v4, v5
	s_delay_alu instid0(VALU_DEP_3)
	v_mov_b32_e32 v5, v6
	v_mov_b32_e32 v6, v7
; %bb.11:                               ;   in Loop: Header=BB10_8 Depth=1
	s_and_not1_saveexec_b32 s16, s16
; %bb.12:                               ;   in Loop: Header=BB10_8 Depth=1
	s_delay_alu instid0(VALU_DEP_1)
	v_dual_mov_b32 v3, v5 :: v_dual_mov_b32 v4, v6
	v_dual_mov_b32 v5, v0 :: v_dual_mov_b32 v6, v1
; %bb.13:                               ;   in Loop: Header=BB10_8 Depth=1
	s_or_b32 exec_lo, exec_lo, s16
.LBB10_14:                              ;   in Loop: Header=BB10_8 Depth=1
	s_and_not1_saveexec_b32 s0, s0
	s_cbranch_execz .LBB10_18
; %bb.15:                               ;   in Loop: Header=BB10_8 Depth=1
	s_mov_b32 s16, exec_lo
	v_cmpx_eq_u32_e32 1, v26
; %bb.16:                               ;   in Loop: Header=BB10_8 Depth=1
	v_dual_mov_b32 v3, v4 :: v_dual_mov_b32 v4, v5
	v_dual_mov_b32 v5, v6 :: v_dual_mov_b32 v6, v0
; %bb.17:                               ;   in Loop: Header=BB10_8 Depth=1
	s_or_b32 exec_lo, exec_lo, s16
.LBB10_18:                              ;   in Loop: Header=BB10_8 Depth=1
	s_delay_alu instid0(SALU_CYCLE_1) | instskip(NEXT) | instid1(VALU_DEP_2)
	s_or_b32 exec_lo, exec_lo, s0
	v_cvt_f32_u32_e32 v3, v3
	v_cvt_f32_u32_e32 v4, v4
	s_delay_alu instid0(VALU_DEP_1) | instskip(NEXT) | instid1(VALU_DEP_1)
	v_fmaak_f32 v4, 0x30c90fdb, v4, 0x30c90fdb
	v_dual_fmaak_f32 v3, 0x2f800000, v3, 0x2f800000 :: v_dual_mul_f32 v4, 0.15915494, v4
	s_delay_alu instid0(VALU_DEP_1) | instskip(SKIP_1) | instid1(VALU_DEP_1)
	v_cmp_gt_f32_e32 vcc_lo, 0x800000, v3
	v_cndmask_b32_e64 v7, 1.0, 0x4f800000, vcc_lo
	v_mul_f32_e32 v3, v3, v7
	s_delay_alu instid0(VALU_DEP_1) | instskip(SKIP_2) | instid1(VALU_DEP_1)
	v_log_f32_e32 v3, v3
	s_waitcnt_depctr 0xfff
	v_mul_f32_e32 v7, 0x3f317217, v3
	v_fma_f32 v13, 0x3f317217, v3, -v7
	s_delay_alu instid0(VALU_DEP_1) | instskip(NEXT) | instid1(VALU_DEP_1)
	v_fmac_f32_e32 v13, 0x3377d1cf, v3
	v_add_f32_e32 v7, v7, v13
	v_cndmask_b32_e64 v13, 0, 0x41b17218, vcc_lo
	v_cmp_gt_f32_e64 vcc_lo, 0x7f800000, |v3|
	s_delay_alu instid0(VALU_DEP_3) | instskip(NEXT) | instid1(VALU_DEP_1)
	v_cndmask_b32_e32 v3, v3, v7, vcc_lo
	v_sub_f32_e32 v3, v3, v13
	s_delay_alu instid0(VALU_DEP_1) | instskip(NEXT) | instid1(VALU_DEP_1)
	v_mul_f32_e32 v3, -2.0, v3
	v_mul_f32_e32 v7, 0x4f800000, v3
	v_cmp_gt_f32_e32 vcc_lo, 0xf800000, v3
	s_delay_alu instid0(VALU_DEP_2) | instskip(NEXT) | instid1(VALU_DEP_1)
	v_cndmask_b32_e32 v3, v3, v7, vcc_lo
	v_sqrt_f32_e32 v7, v3
	s_waitcnt_depctr 0xfff
	v_add_nc_u32_e32 v13, -1, v7
	v_add_nc_u32_e32 v41, 1, v7
	s_delay_alu instid0(VALU_DEP_2) | instskip(NEXT) | instid1(VALU_DEP_2)
	v_fma_f32 v42, -v13, v7, v3
	v_fma_f32 v43, -v41, v7, v3
	s_delay_alu instid0(VALU_DEP_2) | instskip(NEXT) | instid1(VALU_DEP_1)
	v_cmp_ge_f32_e64 s0, 0, v42
	v_cndmask_b32_e64 v7, v7, v13, s0
	s_delay_alu instid0(VALU_DEP_3) | instskip(NEXT) | instid1(VALU_DEP_1)
	v_cmp_lt_f32_e64 s0, 0, v43
	v_cndmask_b32_e64 v7, v7, v41, s0
	v_cmp_class_f32_e64 s0, v3, 0x260
	s_delay_alu instid0(VALU_DEP_2) | instskip(NEXT) | instid1(VALU_DEP_1)
	v_mul_f32_e32 v13, 0x37800000, v7
	v_cndmask_b32_e32 v7, v7, v13, vcc_lo
	s_delay_alu instid0(VALU_DEP_1)
	v_cndmask_b32_e64 v3, v7, v3, s0
	s_mov_b32 s0, exec_lo
	v_cmpx_gt_i64_e64 s[4:5], v[10:11]
	s_cbranch_execz .LBB10_20
; %bb.19:                               ;   in Loop: Header=BB10_8 Depth=1
	v_sin_f32_e32 v7, v4
	s_waitcnt_depctr 0xfff
	v_mul_f32_e32 v7, v7, v3
	s_delay_alu instid0(VALU_DEP_1) | instskip(NEXT) | instid1(VALU_DEP_1)
	v_fma_f32 v7, s10, v7, s9
	v_mul_f32_e32 v13, 0x3fb8aa3b, v7
	v_cmp_ngt_f32_e32 vcc_lo, 0xc2ce8ed0, v7
	s_delay_alu instid0(VALU_DEP_2) | instskip(SKIP_1) | instid1(VALU_DEP_2)
	v_fma_f32 v41, 0x3fb8aa3b, v7, -v13
	v_rndne_f32_e32 v42, v13
	v_fmac_f32_e32 v41, 0x32a5705f, v7
	s_delay_alu instid0(VALU_DEP_2) | instskip(NEXT) | instid1(VALU_DEP_1)
	v_sub_f32_e32 v13, v13, v42
	v_add_f32_e32 v13, v13, v41
	v_cvt_i32_f32_e32 v41, v42
	s_delay_alu instid0(VALU_DEP_2) | instskip(SKIP_3) | instid1(VALU_DEP_2)
	v_exp_f32_e32 v13, v13
	s_waitcnt_depctr 0xfff
	v_ldexp_f32 v13, v13, v41
	v_add_nc_u32_e32 v41, s15, v36
	v_cndmask_b32_e32 v13, 0, v13, vcc_lo
	v_cmp_nlt_f32_e32 vcc_lo, 0x42b17218, v7
	s_delay_alu instid0(VALU_DEP_3) | instskip(NEXT) | instid1(VALU_DEP_3)
	v_ashrrev_i32_e32 v42, 31, v41
	v_cndmask_b32_e32 v7, 0x7f800000, v13, vcc_lo
	v_add_co_u32 v41, vcc_lo, s6, v41
	s_delay_alu instid0(VALU_DEP_3) | instskip(NEXT) | instid1(VALU_DEP_3)
	v_add_co_ci_u32_e32 v42, vcc_lo, s7, v42, vcc_lo
	v_cvt_f16_f32_e32 v7, v7
	global_store_b16 v[41:42], v7, off
.LBB10_20:                              ;   in Loop: Header=BB10_8 Depth=1
	s_or_b32 exec_lo, exec_lo, s0
	v_add_co_u32 v41, vcc_lo, s12, v10
	v_add_co_ci_u32_e32 v42, vcc_lo, 0, v11, vcc_lo
	s_mov_b32 s0, exec_lo
	s_delay_alu instid0(VALU_DEP_1)
	v_cmpx_gt_i64_e64 s[4:5], v[41:42]
	s_cbranch_execz .LBB10_22
; %bb.21:                               ;   in Loop: Header=BB10_8 Depth=1
	v_cos_f32_e32 v4, v4
	s_waitcnt_depctr 0xfff
	v_mul_f32_e32 v3, v4, v3
	s_delay_alu instid0(VALU_DEP_1) | instskip(NEXT) | instid1(VALU_DEP_1)
	v_fma_f32 v3, s10, v3, s9
	v_mul_f32_e32 v4, 0x3fb8aa3b, v3
	v_cmp_ngt_f32_e32 vcc_lo, 0xc2ce8ed0, v3
	s_delay_alu instid0(VALU_DEP_2) | instskip(SKIP_1) | instid1(VALU_DEP_1)
	v_fma_f32 v7, 0x3fb8aa3b, v3, -v4
	v_rndne_f32_e32 v13, v4
	v_dual_fmac_f32 v7, 0x32a5705f, v3 :: v_dual_sub_f32 v4, v4, v13
	s_delay_alu instid0(VALU_DEP_1) | instskip(SKIP_1) | instid1(VALU_DEP_2)
	v_add_f32_e32 v4, v4, v7
	v_cvt_i32_f32_e32 v7, v13
	v_exp_f32_e32 v4, v4
	s_waitcnt_depctr 0xfff
	v_ldexp_f32 v4, v4, v7
	s_delay_alu instid0(VALU_DEP_1) | instskip(SKIP_1) | instid1(VALU_DEP_2)
	v_dual_cndmask_b32 v4, 0, v4 :: v_dual_add_nc_u32 v7, s15, v39
	v_cmp_nlt_f32_e32 vcc_lo, 0x42b17218, v3
	v_ashrrev_i32_e32 v13, 31, v7
	s_delay_alu instid0(VALU_DEP_3) | instskip(SKIP_1) | instid1(VALU_DEP_3)
	v_cndmask_b32_e32 v41, 0x7f800000, v4, vcc_lo
	v_add_co_u32 v3, vcc_lo, s6, v7
	v_add_co_ci_u32_e32 v4, vcc_lo, s7, v13, vcc_lo
	s_delay_alu instid0(VALU_DEP_3)
	v_cvt_f16_f32_e32 v7, v41
	global_store_b16 v[3:4], v7, off
.LBB10_22:                              ;   in Loop: Header=BB10_8 Depth=1
	s_or_b32 exec_lo, exec_lo, s0
	v_cvt_f32_u32_e32 v3, v5
	v_cvt_f32_u32_e32 v6, v6
	s_delay_alu instid0(VALU_DEP_2) | instskip(NEXT) | instid1(VALU_DEP_2)
	v_fmaak_f32 v3, 0x2f800000, v3, 0x2f800000
	v_fmaak_f32 v6, 0x30c90fdb, v6, 0x30c90fdb
	s_delay_alu instid0(VALU_DEP_2) | instskip(SKIP_1) | instid1(VALU_DEP_1)
	v_cmp_gt_f32_e32 vcc_lo, 0x800000, v3
	v_cndmask_b32_e64 v4, 1.0, 0x4f800000, vcc_lo
	v_mul_f32_e32 v3, v3, v4
	s_delay_alu instid0(VALU_DEP_1) | instskip(SKIP_2) | instid1(VALU_DEP_1)
	v_log_f32_e32 v3, v3
	s_waitcnt_depctr 0xfff
	v_mul_f32_e32 v4, 0x3f317217, v3
	v_fma_f32 v5, 0x3f317217, v3, -v4
	s_delay_alu instid0(VALU_DEP_1) | instskip(NEXT) | instid1(VALU_DEP_1)
	v_fmac_f32_e32 v5, 0x3377d1cf, v3
	v_add_f32_e32 v4, v4, v5
	v_cndmask_b32_e64 v5, 0, 0x41b17218, vcc_lo
	v_cmp_gt_f32_e64 vcc_lo, 0x7f800000, |v3|
	s_delay_alu instid0(VALU_DEP_3) | instskip(NEXT) | instid1(VALU_DEP_1)
	v_cndmask_b32_e32 v3, v3, v4, vcc_lo
	v_sub_f32_e32 v3, v3, v5
	s_delay_alu instid0(VALU_DEP_1) | instskip(NEXT) | instid1(VALU_DEP_1)
	v_mul_f32_e32 v3, -2.0, v3
	v_cmp_gt_f32_e32 vcc_lo, 0xf800000, v3
	v_mul_f32_e32 v4, 0x4f800000, v3
	s_delay_alu instid0(VALU_DEP_1) | instskip(NEXT) | instid1(VALU_DEP_1)
	v_cndmask_b32_e32 v5, v3, v4, vcc_lo
	v_sqrt_f32_e32 v3, v5
	s_waitcnt_depctr 0xfff
	v_add_nc_u32_e32 v4, -1, v3
	v_add_nc_u32_e32 v7, 1, v3
	s_delay_alu instid0(VALU_DEP_2) | instskip(NEXT) | instid1(VALU_DEP_2)
	v_fma_f32 v13, -v4, v3, v5
	v_fma_f32 v41, -v7, v3, v5
	s_delay_alu instid0(VALU_DEP_2) | instskip(NEXT) | instid1(VALU_DEP_1)
	v_cmp_ge_f32_e64 s0, 0, v13
	v_cndmask_b32_e64 v3, v3, v4, s0
	s_delay_alu instid0(VALU_DEP_3) | instskip(NEXT) | instid1(VALU_DEP_1)
	v_cmp_lt_f32_e64 s0, 0, v41
	v_cndmask_b32_e64 v7, v3, v7, s0
	v_add_co_u32 v3, s0, s11, v10
	s_delay_alu instid0(VALU_DEP_1) | instskip(NEXT) | instid1(VALU_DEP_3)
	v_add_co_ci_u32_e64 v4, s0, 0, v11, s0
	v_mul_f32_e32 v13, 0x37800000, v7
	v_cmp_class_f32_e64 s0, v5, 0x260
	s_delay_alu instid0(VALU_DEP_2) | instskip(NEXT) | instid1(VALU_DEP_4)
	v_cndmask_b32_e32 v7, v7, v13, vcc_lo
	v_cmp_gt_i64_e32 vcc_lo, s[4:5], v[3:4]
	v_mul_f32_e32 v4, 0.15915494, v6
	s_delay_alu instid0(VALU_DEP_3)
	v_cndmask_b32_e64 v3, v7, v5, s0
	s_and_saveexec_b32 s0, vcc_lo
	s_cbranch_execz .LBB10_24
; %bb.23:                               ;   in Loop: Header=BB10_8 Depth=1
	s_delay_alu instid0(VALU_DEP_2) | instskip(SKIP_2) | instid1(VALU_DEP_1)
	v_sin_f32_e32 v5, v4
	s_waitcnt_depctr 0xfff
	v_mul_f32_e32 v5, v5, v3
	v_fma_f32 v5, s10, v5, s9
	s_delay_alu instid0(VALU_DEP_1) | instskip(SKIP_1) | instid1(VALU_DEP_2)
	v_mul_f32_e32 v6, 0x3fb8aa3b, v5
	v_cmp_ngt_f32_e32 vcc_lo, 0xc2ce8ed0, v5
	v_fma_f32 v7, 0x3fb8aa3b, v5, -v6
	v_rndne_f32_e32 v13, v6
	s_delay_alu instid0(VALU_DEP_2) | instskip(NEXT) | instid1(VALU_DEP_2)
	v_fmac_f32_e32 v7, 0x32a5705f, v5
	v_sub_f32_e32 v6, v6, v13
	s_delay_alu instid0(VALU_DEP_1) | instskip(SKIP_1) | instid1(VALU_DEP_2)
	v_add_f32_e32 v6, v6, v7
	v_cvt_i32_f32_e32 v7, v13
	v_exp_f32_e32 v6, v6
	s_waitcnt_depctr 0xfff
	v_ldexp_f32 v6, v6, v7
	v_add_nc_u32_e32 v7, s15, v38
	s_delay_alu instid0(VALU_DEP_2) | instskip(SKIP_1) | instid1(VALU_DEP_3)
	v_cndmask_b32_e32 v6, 0, v6, vcc_lo
	v_cmp_nlt_f32_e32 vcc_lo, 0x42b17218, v5
	v_ashrrev_i32_e32 v13, 31, v7
	s_delay_alu instid0(VALU_DEP_3) | instskip(SKIP_1) | instid1(VALU_DEP_3)
	v_cndmask_b32_e32 v41, 0x7f800000, v6, vcc_lo
	v_add_co_u32 v5, vcc_lo, s6, v7
	v_add_co_ci_u32_e32 v6, vcc_lo, s7, v13, vcc_lo
	s_delay_alu instid0(VALU_DEP_3)
	v_cvt_f16_f32_e32 v7, v41
	global_store_b16 v[5:6], v7, off
.LBB10_24:                              ;   in Loop: Header=BB10_8 Depth=1
	s_or_b32 exec_lo, exec_lo, s0
	v_add_co_u32 v5, vcc_lo, s8, v10
	v_add_co_ci_u32_e32 v6, vcc_lo, 0, v11, vcc_lo
	s_mov_b32 s0, exec_lo
	s_delay_alu instid0(VALU_DEP_1)
	v_cmpx_gt_i64_e64 s[4:5], v[5:6]
	s_cbranch_execz .LBB10_7
; %bb.25:                               ;   in Loop: Header=BB10_8 Depth=1
	v_cos_f32_e32 v4, v4
	s_waitcnt_depctr 0xfff
	v_mul_f32_e32 v3, v4, v3
	s_delay_alu instid0(VALU_DEP_1) | instskip(NEXT) | instid1(VALU_DEP_1)
	v_fma_f32 v3, s10, v3, s9
	v_mul_f32_e32 v4, 0x3fb8aa3b, v3
	v_cmp_ngt_f32_e32 vcc_lo, 0xc2ce8ed0, v3
	s_delay_alu instid0(VALU_DEP_2) | instskip(SKIP_1) | instid1(VALU_DEP_1)
	v_fma_f32 v5, 0x3fb8aa3b, v3, -v4
	v_rndne_f32_e32 v6, v4
	v_dual_fmac_f32 v5, 0x32a5705f, v3 :: v_dual_sub_f32 v4, v4, v6
	s_delay_alu instid0(VALU_DEP_1) | instskip(SKIP_1) | instid1(VALU_DEP_2)
	v_add_f32_e32 v4, v4, v5
	v_cvt_i32_f32_e32 v5, v6
	v_exp_f32_e32 v4, v4
	s_waitcnt_depctr 0xfff
	v_ldexp_f32 v4, v4, v5
	s_delay_alu instid0(VALU_DEP_1) | instskip(SKIP_1) | instid1(VALU_DEP_2)
	v_dual_cndmask_b32 v4, 0, v4 :: v_dual_add_nc_u32 v5, s15, v37
	v_cmp_nlt_f32_e32 vcc_lo, 0x42b17218, v3
	v_ashrrev_i32_e32 v6, 31, v5
	s_delay_alu instid0(VALU_DEP_3) | instskip(SKIP_1) | instid1(VALU_DEP_3)
	v_cndmask_b32_e32 v7, 0x7f800000, v4, vcc_lo
	v_add_co_u32 v3, vcc_lo, s6, v5
	v_add_co_ci_u32_e32 v4, vcc_lo, s7, v6, vcc_lo
	s_delay_alu instid0(VALU_DEP_3)
	v_cvt_f16_f32_e32 v5, v7
	global_store_b16 v[3:4], v5, off
	s_branch .LBB10_7
.LBB10_26:
	s_endpgm
.LBB10_27:
                                        ; implicit-def: $sgpr2_sgpr3
	s_branch .LBB10_4
	.section	.rodata,"a",@progbits
	.p2align	6, 0x0
	.amdhsa_kernel _ZN2at6native12_GLOBAL__N_143distribution_elementwise_grid_stride_kernelIfLi4EZNS0_9templates4cuda20normal_and_transformIN3c104HalfEfPNS_17CUDAGeneratorImplEZZZNS4_17log_normal_kernelIS9_EEvRNS_18TensorIteratorBaseEddT_ENKUlvE_clEvENKUlvE1_clEvEUlfE_EEvSC_T1_T2_EUlP25hiprandStatePhilox4_32_10E0_ZNS1_27distribution_nullary_kernelIS7_f15HIP_vector_typeIfLj4EES9_SL_SG_EEvSC_SI_RKT3_T4_EUlifE_EEvlNS_15PhiloxCudaStateESH_SI_
		.amdhsa_group_segment_fixed_size 0
		.amdhsa_private_segment_fixed_size 0
		.amdhsa_kernarg_size 328
		.amdhsa_user_sgpr_count 15
		.amdhsa_user_sgpr_dispatch_ptr 0
		.amdhsa_user_sgpr_queue_ptr 0
		.amdhsa_user_sgpr_kernarg_segment_ptr 1
		.amdhsa_user_sgpr_dispatch_id 0
		.amdhsa_user_sgpr_private_segment_size 0
		.amdhsa_wavefront_size32 1
		.amdhsa_uses_dynamic_stack 0
		.amdhsa_enable_private_segment 0
		.amdhsa_system_sgpr_workgroup_id_x 1
		.amdhsa_system_sgpr_workgroup_id_y 0
		.amdhsa_system_sgpr_workgroup_id_z 0
		.amdhsa_system_sgpr_workgroup_info 0
		.amdhsa_system_vgpr_workitem_id 0
		.amdhsa_next_free_vgpr 46
		.amdhsa_next_free_sgpr 23
		.amdhsa_reserve_vcc 1
		.amdhsa_float_round_mode_32 0
		.amdhsa_float_round_mode_16_64 0
		.amdhsa_float_denorm_mode_32 3
		.amdhsa_float_denorm_mode_16_64 3
		.amdhsa_dx10_clamp 1
		.amdhsa_ieee_mode 1
		.amdhsa_fp16_overflow 0
		.amdhsa_workgroup_processor_mode 1
		.amdhsa_memory_ordered 1
		.amdhsa_forward_progress 0
		.amdhsa_shared_vgpr_count 0
		.amdhsa_exception_fp_ieee_invalid_op 0
		.amdhsa_exception_fp_denorm_src 0
		.amdhsa_exception_fp_ieee_div_zero 0
		.amdhsa_exception_fp_ieee_overflow 0
		.amdhsa_exception_fp_ieee_underflow 0
		.amdhsa_exception_fp_ieee_inexact 0
		.amdhsa_exception_int_div_zero 0
	.end_amdhsa_kernel
	.section	.text._ZN2at6native12_GLOBAL__N_143distribution_elementwise_grid_stride_kernelIfLi4EZNS0_9templates4cuda20normal_and_transformIN3c104HalfEfPNS_17CUDAGeneratorImplEZZZNS4_17log_normal_kernelIS9_EEvRNS_18TensorIteratorBaseEddT_ENKUlvE_clEvENKUlvE1_clEvEUlfE_EEvSC_T1_T2_EUlP25hiprandStatePhilox4_32_10E0_ZNS1_27distribution_nullary_kernelIS7_f15HIP_vector_typeIfLj4EES9_SL_SG_EEvSC_SI_RKT3_T4_EUlifE_EEvlNS_15PhiloxCudaStateESH_SI_,"axG",@progbits,_ZN2at6native12_GLOBAL__N_143distribution_elementwise_grid_stride_kernelIfLi4EZNS0_9templates4cuda20normal_and_transformIN3c104HalfEfPNS_17CUDAGeneratorImplEZZZNS4_17log_normal_kernelIS9_EEvRNS_18TensorIteratorBaseEddT_ENKUlvE_clEvENKUlvE1_clEvEUlfE_EEvSC_T1_T2_EUlP25hiprandStatePhilox4_32_10E0_ZNS1_27distribution_nullary_kernelIS7_f15HIP_vector_typeIfLj4EES9_SL_SG_EEvSC_SI_RKT3_T4_EUlifE_EEvlNS_15PhiloxCudaStateESH_SI_,comdat
.Lfunc_end10:
	.size	_ZN2at6native12_GLOBAL__N_143distribution_elementwise_grid_stride_kernelIfLi4EZNS0_9templates4cuda20normal_and_transformIN3c104HalfEfPNS_17CUDAGeneratorImplEZZZNS4_17log_normal_kernelIS9_EEvRNS_18TensorIteratorBaseEddT_ENKUlvE_clEvENKUlvE1_clEvEUlfE_EEvSC_T1_T2_EUlP25hiprandStatePhilox4_32_10E0_ZNS1_27distribution_nullary_kernelIS7_f15HIP_vector_typeIfLj4EES9_SL_SG_EEvSC_SI_RKT3_T4_EUlifE_EEvlNS_15PhiloxCudaStateESH_SI_, .Lfunc_end10-_ZN2at6native12_GLOBAL__N_143distribution_elementwise_grid_stride_kernelIfLi4EZNS0_9templates4cuda20normal_and_transformIN3c104HalfEfPNS_17CUDAGeneratorImplEZZZNS4_17log_normal_kernelIS9_EEvRNS_18TensorIteratorBaseEddT_ENKUlvE_clEvENKUlvE1_clEvEUlfE_EEvSC_T1_T2_EUlP25hiprandStatePhilox4_32_10E0_ZNS1_27distribution_nullary_kernelIS7_f15HIP_vector_typeIfLj4EES9_SL_SG_EEvSC_SI_RKT3_T4_EUlifE_EEvlNS_15PhiloxCudaStateESH_SI_
                                        ; -- End function
	.section	.AMDGPU.csdata,"",@progbits
; Kernel info:
; codeLenInByte = 3884
; NumSgprs: 25
; NumVgprs: 46
; ScratchSize: 0
; MemoryBound: 0
; FloatMode: 240
; IeeeMode: 1
; LDSByteSize: 0 bytes/workgroup (compile time only)
; SGPRBlocks: 3
; VGPRBlocks: 5
; NumSGPRsForWavesPerEU: 25
; NumVGPRsForWavesPerEU: 46
; Occupancy: 16
; WaveLimiterHint : 0
; COMPUTE_PGM_RSRC2:SCRATCH_EN: 0
; COMPUTE_PGM_RSRC2:USER_SGPR: 15
; COMPUTE_PGM_RSRC2:TRAP_HANDLER: 0
; COMPUTE_PGM_RSRC2:TGID_X_EN: 1
; COMPUTE_PGM_RSRC2:TGID_Y_EN: 0
; COMPUTE_PGM_RSRC2:TGID_Z_EN: 0
; COMPUTE_PGM_RSRC2:TIDIG_COMP_CNT: 0
	.section	.text._ZN2at6native12_GLOBAL__N_143distribution_elementwise_grid_stride_kernelIfLi4EZNS0_9templates4cuda20normal_and_transformIN3c104HalfEfPNS_17CUDAGeneratorImplEZZZNS4_17log_normal_kernelIS9_EEvRNS_18TensorIteratorBaseEddT_ENKUlvE_clEvENKUlvE1_clEvEUlfE_EEvSC_T1_T2_EUlP25hiprandStatePhilox4_32_10E0_ZNS1_27distribution_nullary_kernelIS7_f15HIP_vector_typeIfLj4EES9_SL_SG_EEvSC_SI_RKT3_T4_EUlifE0_EEvlNS_15PhiloxCudaStateESH_SI_,"axG",@progbits,_ZN2at6native12_GLOBAL__N_143distribution_elementwise_grid_stride_kernelIfLi4EZNS0_9templates4cuda20normal_and_transformIN3c104HalfEfPNS_17CUDAGeneratorImplEZZZNS4_17log_normal_kernelIS9_EEvRNS_18TensorIteratorBaseEddT_ENKUlvE_clEvENKUlvE1_clEvEUlfE_EEvSC_T1_T2_EUlP25hiprandStatePhilox4_32_10E0_ZNS1_27distribution_nullary_kernelIS7_f15HIP_vector_typeIfLj4EES9_SL_SG_EEvSC_SI_RKT3_T4_EUlifE0_EEvlNS_15PhiloxCudaStateESH_SI_,comdat
	.globl	_ZN2at6native12_GLOBAL__N_143distribution_elementwise_grid_stride_kernelIfLi4EZNS0_9templates4cuda20normal_and_transformIN3c104HalfEfPNS_17CUDAGeneratorImplEZZZNS4_17log_normal_kernelIS9_EEvRNS_18TensorIteratorBaseEddT_ENKUlvE_clEvENKUlvE1_clEvEUlfE_EEvSC_T1_T2_EUlP25hiprandStatePhilox4_32_10E0_ZNS1_27distribution_nullary_kernelIS7_f15HIP_vector_typeIfLj4EES9_SL_SG_EEvSC_SI_RKT3_T4_EUlifE0_EEvlNS_15PhiloxCudaStateESH_SI_ ; -- Begin function _ZN2at6native12_GLOBAL__N_143distribution_elementwise_grid_stride_kernelIfLi4EZNS0_9templates4cuda20normal_and_transformIN3c104HalfEfPNS_17CUDAGeneratorImplEZZZNS4_17log_normal_kernelIS9_EEvRNS_18TensorIteratorBaseEddT_ENKUlvE_clEvENKUlvE1_clEvEUlfE_EEvSC_T1_T2_EUlP25hiprandStatePhilox4_32_10E0_ZNS1_27distribution_nullary_kernelIS7_f15HIP_vector_typeIfLj4EES9_SL_SG_EEvSC_SI_RKT3_T4_EUlifE0_EEvlNS_15PhiloxCudaStateESH_SI_
	.p2align	8
	.type	_ZN2at6native12_GLOBAL__N_143distribution_elementwise_grid_stride_kernelIfLi4EZNS0_9templates4cuda20normal_and_transformIN3c104HalfEfPNS_17CUDAGeneratorImplEZZZNS4_17log_normal_kernelIS9_EEvRNS_18TensorIteratorBaseEddT_ENKUlvE_clEvENKUlvE1_clEvEUlfE_EEvSC_T1_T2_EUlP25hiprandStatePhilox4_32_10E0_ZNS1_27distribution_nullary_kernelIS7_f15HIP_vector_typeIfLj4EES9_SL_SG_EEvSC_SI_RKT3_T4_EUlifE0_EEvlNS_15PhiloxCudaStateESH_SI_,@function
_ZN2at6native12_GLOBAL__N_143distribution_elementwise_grid_stride_kernelIfLi4EZNS0_9templates4cuda20normal_and_transformIN3c104HalfEfPNS_17CUDAGeneratorImplEZZZNS4_17log_normal_kernelIS9_EEvRNS_18TensorIteratorBaseEddT_ENKUlvE_clEvENKUlvE1_clEvEUlfE_EEvSC_T1_T2_EUlP25hiprandStatePhilox4_32_10E0_ZNS1_27distribution_nullary_kernelIS7_f15HIP_vector_typeIfLj4EES9_SL_SG_EEvSC_SI_RKT3_T4_EUlifE0_EEvlNS_15PhiloxCudaStateESH_SI_: ; @_ZN2at6native12_GLOBAL__N_143distribution_elementwise_grid_stride_kernelIfLi4EZNS0_9templates4cuda20normal_and_transformIN3c104HalfEfPNS_17CUDAGeneratorImplEZZZNS4_17log_normal_kernelIS9_EEvRNS_18TensorIteratorBaseEddT_ENKUlvE_clEvENKUlvE1_clEvEUlfE_EEvSC_T1_T2_EUlP25hiprandStatePhilox4_32_10E0_ZNS1_27distribution_nullary_kernelIS7_f15HIP_vector_typeIfLj4EES9_SL_SG_EEvSC_SI_RKT3_T4_EUlifE0_EEvlNS_15PhiloxCudaStateESH_SI_
; %bb.0:
	s_clause 0x2
	s_load_b64 s[4:5], s[0:1], 0x10
	s_load_b128 s[16:19], s[0:1], 0x0
	s_load_b32 s2, s[0:1], 0x20
	s_waitcnt lgkmcnt(0)
	v_dual_mov_b32 v2, s4 :: v_dual_mov_b32 v3, s5
	v_dual_mov_b32 v8, s18 :: v_dual_mov_b32 v9, s19
	s_bitcmp0_b32 s2, 0
	s_mov_b32 s2, 0
	s_cbranch_scc1 .LBB11_2
; %bb.1:
	v_dual_mov_b32 v1, s4 :: v_dual_mov_b32 v2, s5
	v_dual_mov_b32 v4, s18 :: v_dual_mov_b32 v5, s19
	s_load_b64 s[4:5], s[0:1], 0x18
	flat_load_b64 v[2:3], v[1:2]
	flat_load_b64 v[8:9], v[4:5]
	s_waitcnt vmcnt(1) lgkmcnt(0)
	v_add_co_u32 v2, vcc_lo, v2, s4
	v_add_co_ci_u32_e32 v3, vcc_lo, s5, v3, vcc_lo
.LBB11_2:
	s_clause 0x1
	s_load_b32 s3, s[0:1], 0x154
	s_load_b32 s4, s[0:1], 0x148
	s_waitcnt lgkmcnt(0)
	s_and_b32 s5, s3, 0xffff
	s_add_u32 s6, s16, -1
	s_mul_i32 s26, s4, s5
	s_addc_u32 s3, s17, -1
	s_lshl_b32 s27, s26, 2
	s_cmp_lg_u64 s[2:3], 0
	s_cbranch_scc0 .LBB11_79
; %bb.3:
	v_cvt_f32_ubyte0_e32 v1, 0
	v_cvt_f32_u32_e32 v4, s27
	s_sub_u32 s8, 0, s27
	s_subb_u32 s9, 0, 0
	s_delay_alu instid0(VALU_DEP_1) | instskip(NEXT) | instid1(VALU_DEP_1)
	v_fmamk_f32 v1, v1, 0x4f800000, v4
	v_rcp_f32_e32 v1, v1
	s_waitcnt_depctr 0xfff
	v_mul_f32_e32 v1, 0x5f7ffffc, v1
	s_delay_alu instid0(VALU_DEP_1) | instskip(NEXT) | instid1(VALU_DEP_1)
	v_mul_f32_e32 v4, 0x2f800000, v1
	v_trunc_f32_e32 v4, v4
	s_delay_alu instid0(VALU_DEP_1) | instskip(SKIP_1) | instid1(VALU_DEP_2)
	v_fmamk_f32 v1, v4, 0xcf800000, v1
	v_cvt_u32_f32_e32 v4, v4
	v_cvt_u32_f32_e32 v1, v1
	s_delay_alu instid0(VALU_DEP_2) | instskip(NEXT) | instid1(VALU_DEP_2)
	v_readfirstlane_b32 s2, v4
	v_readfirstlane_b32 s7, v1
	s_delay_alu instid0(VALU_DEP_2) | instskip(NEXT) | instid1(VALU_DEP_1)
	s_mul_i32 s10, s8, s2
	s_mul_hi_u32 s12, s8, s7
	s_mul_i32 s11, s9, s7
	s_add_i32 s10, s12, s10
	s_mul_i32 s13, s8, s7
	s_add_i32 s10, s10, s11
	s_mul_hi_u32 s12, s7, s13
	s_mul_hi_u32 s14, s2, s13
	s_mul_i32 s11, s2, s13
	s_mul_hi_u32 s13, s7, s10
	s_mul_i32 s7, s7, s10
	s_mul_hi_u32 s18, s2, s10
	s_add_u32 s7, s12, s7
	s_addc_u32 s12, 0, s13
	s_add_u32 s7, s7, s11
	s_mul_i32 s10, s2, s10
	s_addc_u32 s7, s12, s14
	s_addc_u32 s11, s18, 0
	s_add_u32 s7, s7, s10
	s_addc_u32 s10, 0, s11
	v_add_co_u32 v1, s7, v1, s7
	s_delay_alu instid0(VALU_DEP_1) | instskip(SKIP_1) | instid1(VALU_DEP_1)
	s_cmp_lg_u32 s7, 0
	s_addc_u32 s2, s2, s10
	v_readfirstlane_b32 s7, v1
	s_mul_i32 s10, s8, s2
	s_delay_alu instid0(VALU_DEP_1)
	s_mul_hi_u32 s11, s8, s7
	s_mul_i32 s9, s9, s7
	s_add_i32 s10, s11, s10
	s_mul_i32 s8, s8, s7
	s_add_i32 s10, s10, s9
	s_mul_hi_u32 s11, s2, s8
	s_mul_i32 s12, s2, s8
	s_mul_hi_u32 s8, s7, s8
	s_mul_hi_u32 s13, s7, s10
	s_mul_i32 s7, s7, s10
	s_mul_hi_u32 s9, s2, s10
	s_add_u32 s7, s8, s7
	s_addc_u32 s8, 0, s13
	s_add_u32 s7, s7, s12
	s_mul_i32 s10, s2, s10
	s_addc_u32 s7, s8, s11
	s_addc_u32 s8, s9, 0
	s_add_u32 s7, s7, s10
	s_addc_u32 s8, 0, s8
	v_add_co_u32 v1, s7, v1, s7
	s_delay_alu instid0(VALU_DEP_1) | instskip(SKIP_2) | instid1(VALU_DEP_1)
	s_cmp_lg_u32 s7, 0
	s_addc_u32 s7, s2, s8
	s_ashr_i32 s8, s3, 31
	v_readfirstlane_b32 s10, v1
	s_add_u32 s2, s6, s8
	s_mov_b32 s9, s8
	s_addc_u32 s3, s3, s8
	s_delay_alu instid0(SALU_CYCLE_1) | instskip(NEXT) | instid1(SALU_CYCLE_1)
	s_xor_b64 s[2:3], s[2:3], s[8:9]
	s_mul_i32 s12, s2, s7
	s_mul_hi_u32 s13, s2, s10
	s_mul_hi_u32 s11, s2, s7
	;; [unrolled: 1-line block ×3, first 2 shown]
	s_mul_i32 s10, s3, s10
	s_add_u32 s12, s13, s12
	s_addc_u32 s11, 0, s11
	s_mul_hi_u32 s14, s3, s7
	s_add_u32 s10, s12, s10
	s_mul_i32 s7, s3, s7
	s_addc_u32 s10, s11, s18
	s_addc_u32 s11, s14, 0
	s_add_u32 s7, s10, s7
	s_addc_u32 s10, 0, s11
	s_mul_i32 s12, s27, s7
	s_add_u32 s11, s7, 1
	v_sub_co_u32 v1, s2, s2, s12
	s_mul_hi_u32 s12, s27, s7
	s_addc_u32 s13, s10, 0
	s_mul_i32 s14, s27, s10
	s_delay_alu instid0(VALU_DEP_1)
	v_sub_co_u32 v4, s18, v1, s27
	s_add_u32 s19, s7, 2
	s_addc_u32 s20, s10, 0
	s_add_i32 s12, s12, s14
	s_cmp_lg_u32 s2, 0
	v_readfirstlane_b32 s2, v4
	s_subb_u32 s3, s3, s12
	s_cmp_lg_u32 s18, 0
	s_subb_u32 s12, s3, 0
	s_delay_alu instid0(VALU_DEP_1) | instskip(SKIP_4) | instid1(SALU_CYCLE_1)
	s_cmp_ge_u32 s2, s27
	s_cselect_b32 s2, -1, 0
	s_cmp_eq_u32 s12, 0
	v_readfirstlane_b32 s12, v1
	s_cselect_b32 s2, s2, -1
	s_cmp_lg_u32 s2, 0
	s_cselect_b32 s2, s19, s11
	s_cselect_b32 s11, s20, s13
	s_cmp_ge_u32 s12, s27
	s_cselect_b32 s12, -1, 0
	s_cmp_eq_u32 s3, 0
	s_cselect_b32 s3, s12, -1
	s_delay_alu instid0(SALU_CYCLE_1) | instskip(SKIP_2) | instid1(SALU_CYCLE_1)
	s_cmp_lg_u32 s3, 0
	s_cselect_b32 s3, s11, s10
	s_cselect_b32 s2, s2, s7
	s_xor_b64 s[2:3], s[2:3], s[8:9]
	s_delay_alu instid0(SALU_CYCLE_1)
	s_sub_u32 s2, s2, s8
	s_subb_u32 s3, s3, s8
	s_cbranch_execnz .LBB11_5
.LBB11_4:
	v_cvt_f32_u32_e32 v1, s27
	s_sub_i32 s3, 0, s27
	s_delay_alu instid0(VALU_DEP_1) | instskip(SKIP_2) | instid1(VALU_DEP_1)
	v_rcp_iflag_f32_e32 v1, v1
	s_waitcnt_depctr 0xfff
	v_mul_f32_e32 v1, 0x4f7ffffe, v1
	v_cvt_u32_f32_e32 v1, v1
	s_delay_alu instid0(VALU_DEP_1) | instskip(NEXT) | instid1(VALU_DEP_1)
	v_readfirstlane_b32 s2, v1
	s_mul_i32 s3, s3, s2
	s_delay_alu instid0(SALU_CYCLE_1) | instskip(NEXT) | instid1(SALU_CYCLE_1)
	s_mul_hi_u32 s3, s2, s3
	s_add_i32 s2, s2, s3
	s_delay_alu instid0(SALU_CYCLE_1) | instskip(NEXT) | instid1(SALU_CYCLE_1)
	s_mul_hi_u32 s2, s6, s2
	s_mul_i32 s3, s2, s27
	s_delay_alu instid0(SALU_CYCLE_1)
	s_sub_i32 s3, s6, s3
	s_add_i32 s6, s2, 1
	s_sub_i32 s7, s3, s27
	s_cmp_ge_u32 s3, s27
	s_cselect_b32 s2, s6, s2
	s_cselect_b32 s3, s7, s3
	s_add_i32 s6, s2, 1
	s_cmp_ge_u32 s3, s27
	s_mov_b32 s3, 0
	s_cselect_b32 s2, s6, s2
.LBB11_5:
	v_mov_b32_e32 v1, 0
	s_add_u32 s2, s2, 1
	s_addc_u32 s3, s3, 0
	s_mul_hi_u32 s6, s26, s2
	s_mul_i32 s3, s26, s3
	v_mad_u64_u32 v[10:11], null, s5, s15, v[0:1]
	s_mul_hi_u32 s4, s4, s5
	s_add_i32 s3, s6, s3
	s_mul_i32 s4, s4, s2
	s_mul_i32 s2, s26, s2
	s_add_i32 s3, s3, s4
	s_mov_b32 s4, exec_lo
	s_lshl_b64 s[2:3], s[2:3], 2
	s_delay_alu instid0(SALU_CYCLE_1)
	v_cmpx_gt_i64_e64 s[2:3], v[10:11]
	s_cbranch_execz .LBB11_78
; %bb.6:
	v_alignbit_b32 v14, v3, v2, 2
	v_mad_u64_u32 v[4:5], null, 0xcd9e8d57, v10, 0
	v_lshrrev_b32_e32 v15, 2, v3
	s_waitcnt vmcnt(0)
	v_dual_mov_b32 v35, v9 :: v_dual_add_nc_u32 v26, 0x96a522ad, v9
	v_mad_u64_u32 v[0:1], null, 0xd2511f53, v14, 0
	v_add_co_u32 v17, null, 0x9e3779b9, v8
	v_xor3_b32 v3, v8, v5, v15
	s_delay_alu instid0(VALU_DEP_4) | instskip(SKIP_2) | instid1(VALU_DEP_4)
	v_add_co_u32 v16, null, 0xbb67ae85, v35
	v_add_co_u32 v18, null, 0x3c6ef372, v8
	v_xor_b32_e32 v1, v1, v9
	v_mad_u64_u32 v[5:6], null, 0xd2511f53, v3, 0
	v_add_co_u32 v19, null, 0x76cf5d0a, v35
	s_delay_alu instid0(VALU_DEP_3) | instskip(SKIP_2) | instid1(VALU_DEP_3)
	v_xor_b32_e32 v1, v1, v11
	v_add_co_u32 v20, null, 0x32370b8f, v35
	v_add_co_u32 v21, null, 0xdaa66d2b, v8
	v_mad_u64_u32 v[12:13], null, 0xcd9e8d57, v1, 0
	v_xor3_b32 v3, v16, v6, v0
	v_add_co_u32 v22, null, 0x78dde6e4, v8
	v_add_co_u32 v24, null, 0xed9eba14, v35
	s_delay_alu instid0(VALU_DEP_3) | instskip(SKIP_4) | instid1(VALU_DEP_4)
	v_mad_u64_u32 v[0:1], null, 0xcd9e8d57, v3, 0
	v_xor3_b32 v6, v17, v13, v4
	v_and_b32_e32 v23, 3, v2
	v_add_co_u32 v27, null, 0xa9066899, v35
	v_add_co_u32 v28, null, 0x1715609d, v8
	v_mad_u64_u32 v[3:4], null, 0xd2511f53, v6, 0
	v_xor3_b32 v1, v18, v1, v12
	v_add_co_u32 v30, null, 0xb54cda56, v8
	v_add_co_u32 v32, null, 0x646e171e, v35
	s_load_b256 s[4:11], s[0:1], 0x30
	s_delay_alu instid0(VALU_DEP_4) | instskip(SKIP_2) | instid1(VALU_DEP_3)
	v_xor3_b32 v12, v19, v4, v5
	v_mad_u64_u32 v[4:5], null, 0xd2511f53, v1, 0
	v_add_co_u32 v29, null, 0x5384540f, v8
	v_mad_u64_u32 v[6:7], null, 0xcd9e8d57, v12, 0
	v_add_co_u32 v34, null, 0x1fd5c5a3, v35
	s_delay_alu instid0(VALU_DEP_4) | instskip(SKIP_3) | instid1(VALU_DEP_4)
	v_xor3_b32 v3, v20, v5, v3
	v_add_co_u32 v31, null, 0xf1bbcdc8, v8
	v_add_co_u32 v35, null, 0xdb3d7428, v35
	v_xor3_b32 v5, v21, v7, v0
	v_mad_u64_u32 v[0:1], null, 0xcd9e8d57, v3, 0
	s_add_u32 s18, s0, 48
	s_clause 0x1
	s_load_b64 s[20:21], s[0:1], 0xf4
	s_load_b128 s[12:15], s[0:1], 0x138
	v_mad_u64_u32 v[12:13], null, 0xd2511f53, v5, 0
	s_addc_u32 s19, s1, 0
	s_waitcnt lgkmcnt(0)
	s_add_i32 s24, s4, -1
	v_xor3_b32 v3, v22, v1, v6
	s_cmp_gt_u32 s24, 1
	v_dual_mov_b32 v36, v11 :: v_dual_add_nc_u32 v25, 0x8ff34781, v8
	s_delay_alu instid0(VALU_DEP_3) | instskip(NEXT) | instid1(VALU_DEP_3)
	v_xor3_b32 v5, v24, v13, v4
	v_mad_u64_u32 v[1:2], null, 0xd2511f53, v3, 0
	s_cselect_b32 s11, -1, 0
	s_cmp_lg_u32 s4, 0
	s_delay_alu instid0(VALU_DEP_2) | instskip(SKIP_2) | instid1(VALU_DEP_2)
	v_mad_u64_u32 v[3:4], null, 0xcd9e8d57, v5, 0
	s_cselect_b32 s29, -1, 0
	s_add_u32 s22, s0, 0xf4
	v_xor3_b32 v2, v27, v2, v12
	s_addc_u32 s23, s1, 0
	s_min_u32 s0, s24, 15
	s_cmp_gt_u32 s4, 1
	s_delay_alu instid0(VALU_DEP_2) | instskip(SKIP_3) | instid1(VALU_DEP_2)
	v_xor3_b32 v0, v28, v4, v0
	v_mad_u64_u32 v[4:5], null, 0xcd9e8d57, v2, 0
	s_cselect_b32 s4, -1, 0
	s_add_i32 s0, s0, 1
	v_mad_u64_u32 v[6:7], null, 0xd2511f53, v0, 0
	s_lshl_b32 s30, s26, 1
	s_and_b32 s31, s0, 3
	s_delay_alu instid0(VALU_DEP_2) | instskip(SKIP_3) | instid1(VALU_DEP_3)
	v_xor3_b32 v2, v30, v5, v3
	s_cmp_lg_u32 s24, 2
	v_mov_b32_e32 v33, v10
	s_cselect_b32 s33, -1, 0
	v_xor3_b32 v5, v32, v7, v1
	v_mad_u64_u32 v[0:1], null, 0xd2511f53, v2, 0
	s_and_b32 s34, s0, 28
	s_cmp_lg_u32 s31, 0
	s_delay_alu instid0(VALU_DEP_2) | instskip(SKIP_2) | instid1(VALU_DEP_2)
	v_mad_u64_u32 v[2:3], null, 0xcd9e8d57, v5, 0
	s_mov_b32 s28, 0
	s_mul_i32 s35, s26, 3
	v_xor3_b32 v1, v34, v1, v6
	s_cselect_b32 s36, -1, 0
	s_delay_alu instid0(VALU_DEP_2) | instskip(NEXT) | instid1(VALU_DEP_2)
	v_xor3_b32 v5, v29, v3, v4
	v_mad_u64_u32 v[3:4], null, 0xcd9e8d57, v1, 0
	s_delay_alu instid0(VALU_DEP_2) | instskip(NEXT) | instid1(VALU_DEP_2)
	v_mad_u64_u32 v[12:13], null, 0xd2511f53, v5, 0
	v_xor3_b32 v2, v31, v4, v2
	s_delay_alu instid0(VALU_DEP_2) | instskip(NEXT) | instid1(VALU_DEP_2)
	v_xor3_b32 v6, v35, v13, v0
	v_mad_u64_u32 v[0:1], null, 0xd2511f53, v2, 0
	s_delay_alu instid0(VALU_DEP_2) | instskip(NEXT) | instid1(VALU_DEP_2)
	v_mad_u64_u32 v[4:5], null, 0xcd9e8d57, v6, 0
	v_mov_b32_e32 v6, v0
	s_delay_alu instid0(VALU_DEP_2) | instskip(NEXT) | instid1(VALU_DEP_4)
	v_xor3_b32 v3, v5, v3, v25
	v_xor3_b32 v5, v1, v12, v26
	s_branch .LBB11_9
.LBB11_7:                               ;   in Loop: Header=BB11_9 Depth=1
	v_mul_f32_e32 v3, 0.15915494, v5
	s_delay_alu instid0(VALU_DEP_1) | instskip(SKIP_2) | instid1(VALU_DEP_1)
	v_cos_f32_e32 v3, v3
	s_waitcnt_depctr 0xfff
	v_mul_f32_e32 v3, v3, v6
	v_fma_f32 v3, v3, s15, s14
	s_delay_alu instid0(VALU_DEP_1) | instskip(SKIP_1) | instid1(VALU_DEP_2)
	v_mul_f32_e32 v5, 0x3fb8aa3b, v3
	v_cmp_ngt_f32_e32 vcc_lo, 0xc2ce8ed0, v3
	v_fma_f32 v6, 0x3fb8aa3b, v3, -v5
	v_rndne_f32_e32 v7, v5
	s_delay_alu instid0(VALU_DEP_2) | instskip(NEXT) | instid1(VALU_DEP_2)
	v_fmac_f32_e32 v6, 0x32a5705f, v3
	v_sub_f32_e32 v5, v5, v7
	s_delay_alu instid0(VALU_DEP_1) | instskip(SKIP_1) | instid1(VALU_DEP_2)
	v_add_f32_e32 v5, v5, v6
	v_cvt_i32_f32_e32 v6, v7
	v_exp_f32_e32 v5, v5
	s_waitcnt_depctr 0xfff
	v_ldexp_f32 v5, v5, v6
	s_delay_alu instid0(VALU_DEP_1) | instskip(SKIP_1) | instid1(VALU_DEP_2)
	v_cndmask_b32_e32 v5, 0, v5, vcc_lo
	v_cmp_nlt_f32_e32 vcc_lo, 0x42b17218, v3
	v_cndmask_b32_e32 v3, 0x7f800000, v5, vcc_lo
	s_delay_alu instid0(VALU_DEP_1)
	v_cvt_f16_f32_e32 v3, v3
	global_store_b16 v4, v3, s[12:13]
.LBB11_8:                               ;   in Loop: Header=BB11_9 Depth=1
	s_or_b32 exec_lo, exec_lo, s37
	v_add_co_u32 v10, vcc_lo, v10, s27
	v_add_co_ci_u32_e32 v11, vcc_lo, 0, v11, vcc_lo
	v_mov_b32_e32 v3, v12
	s_waitcnt_vscnt null, 0x0
	s_barrier
	s_delay_alu instid0(VALU_DEP_2)
	v_cmp_le_i64_e32 vcc_lo, s[2:3], v[10:11]
	buffer_gl0_inv
	v_mov_b32_e32 v6, v3
	v_dual_mov_b32 v5, v2 :: v_dual_mov_b32 v4, v1
	v_mov_b32_e32 v3, v0
	s_or_b32 s28, vcc_lo, s28
	s_delay_alu instid0(SALU_CYCLE_1)
	s_and_not1_b32 exec_lo, exec_lo, s28
	s_cbranch_execz .LBB11_78
.LBB11_9:                               ; =>This Loop Header: Depth=1
                                        ;     Child Loop BB11_24 Depth 2
                                        ;     Child Loop BB11_29 Depth 2
	;; [unrolled: 1-line block ×8, first 2 shown]
	v_add_co_u32 v14, vcc_lo, v14, 1
	s_delay_alu instid0(VALU_DEP_1) | instskip(SKIP_2) | instid1(VALU_DEP_1)
	v_cndmask_b32_e64 v0, 0, 1, vcc_lo
	v_add_co_ci_u32_e32 v15, vcc_lo, 0, v15, vcc_lo
	s_mov_b32 s0, exec_lo
	v_cmp_eq_u32_e32 vcc_lo, 0, v15
	s_delay_alu instid0(VALU_DEP_3) | instskip(NEXT) | instid1(VALU_DEP_1)
	v_cndmask_b32_e32 v0, 0, v0, vcc_lo
	v_add_nc_u32_e32 v33, v0, v33
	s_delay_alu instid0(VALU_DEP_1) | instskip(SKIP_2) | instid1(VALU_DEP_2)
	v_cmp_eq_u32_e32 vcc_lo, 0, v33
	v_cndmask_b32_e32 v0, 0, v0, vcc_lo
	v_mad_u64_u32 v[12:13], null, 0xcd9e8d57, v33, 0
	v_add_nc_u32_e32 v36, v0, v36
	v_mad_u64_u32 v[0:1], null, 0xd2511f53, v14, 0
	s_delay_alu instid0(VALU_DEP_3) | instskip(NEXT) | instid1(VALU_DEP_2)
	v_xor3_b32 v7, v13, v8, v15
	v_xor_b32_e32 v1, v1, v9
	s_delay_alu instid0(VALU_DEP_1) | instskip(NEXT) | instid1(VALU_DEP_3)
	v_xor_b32_e32 v13, v36, v1
	v_mad_u64_u32 v[1:2], null, 0xd2511f53, v7, 0
	s_delay_alu instid0(VALU_DEP_2) | instskip(NEXT) | instid1(VALU_DEP_2)
	v_mad_u64_u32 v[37:38], null, 0xcd9e8d57, v13, 0
	v_xor3_b32 v0, v16, v2, v0
	s_delay_alu instid0(VALU_DEP_2) | instskip(NEXT) | instid1(VALU_DEP_2)
	v_xor3_b32 v2, v17, v38, v12
	v_mad_u64_u32 v[12:13], null, 0xcd9e8d57, v0, 0
	s_delay_alu instid0(VALU_DEP_2) | instskip(NEXT) | instid1(VALU_DEP_2)
	v_mad_u64_u32 v[38:39], null, 0xd2511f53, v2, 0
	v_xor3_b32 v2, v18, v13, v37
	s_delay_alu instid0(VALU_DEP_2) | instskip(NEXT) | instid1(VALU_DEP_2)
	v_xor3_b32 v7, v19, v39, v1
	;; [unrolled: 6-line block ×9, first 2 shown]
	v_mov_b32_e32 v2, v7
	v_cmpx_lt_i32_e32 1, v23
	s_xor_b32 s0, exec_lo, s0
	s_cbranch_execz .LBB11_15
; %bb.10:                               ;   in Loop: Header=BB11_9 Depth=1
	s_mov_b32 s1, exec_lo
	v_cmpx_lt_i32_e32 2, v23
	s_xor_b32 s1, exec_lo, s1
; %bb.11:                               ;   in Loop: Header=BB11_9 Depth=1
	v_dual_mov_b32 v4, v6 :: v_dual_mov_b32 v5, v0
	v_mov_b32_e32 v6, v1
	s_delay_alu instid0(VALU_DEP_2) | instskip(NEXT) | instid1(VALU_DEP_3)
	v_mov_b32_e32 v3, v4
	v_mov_b32_e32 v4, v5
	s_delay_alu instid0(VALU_DEP_3)
	v_mov_b32_e32 v5, v6
	v_mov_b32_e32 v6, v7
; %bb.12:                               ;   in Loop: Header=BB11_9 Depth=1
	s_and_not1_saveexec_b32 s1, s1
; %bb.13:                               ;   in Loop: Header=BB11_9 Depth=1
	s_delay_alu instid0(VALU_DEP_1)
	v_dual_mov_b32 v3, v5 :: v_dual_mov_b32 v4, v6
	v_dual_mov_b32 v5, v0 :: v_dual_mov_b32 v6, v1
; %bb.14:                               ;   in Loop: Header=BB11_9 Depth=1
	s_or_b32 exec_lo, exec_lo, s1
.LBB11_15:                              ;   in Loop: Header=BB11_9 Depth=1
	s_and_not1_saveexec_b32 s0, s0
	s_cbranch_execz .LBB11_19
; %bb.16:                               ;   in Loop: Header=BB11_9 Depth=1
	s_mov_b32 s1, exec_lo
	v_cmpx_eq_u32_e32 1, v23
; %bb.17:                               ;   in Loop: Header=BB11_9 Depth=1
	v_dual_mov_b32 v3, v4 :: v_dual_mov_b32 v4, v5
	v_dual_mov_b32 v5, v6 :: v_dual_mov_b32 v6, v0
; %bb.18:                               ;   in Loop: Header=BB11_9 Depth=1
	s_or_b32 exec_lo, exec_lo, s1
.LBB11_19:                              ;   in Loop: Header=BB11_9 Depth=1
	s_delay_alu instid0(SALU_CYCLE_1) | instskip(NEXT) | instid1(VALU_DEP_2)
	s_or_b32 exec_lo, exec_lo, s0
	v_cvt_f32_u32_e32 v3, v3
	v_cvt_f32_u32_e32 v4, v4
	s_mov_b32 s37, exec_lo
	s_delay_alu instid0(VALU_DEP_2) | instskip(NEXT) | instid1(VALU_DEP_1)
	v_fmaak_f32 v3, 0x2f800000, v3, 0x2f800000
	v_cmp_gt_f32_e32 vcc_lo, 0x800000, v3
	v_cndmask_b32_e64 v7, 1.0, 0x4f800000, vcc_lo
	s_delay_alu instid0(VALU_DEP_1) | instskip(NEXT) | instid1(VALU_DEP_1)
	v_mul_f32_e32 v3, v3, v7
	v_log_f32_e32 v3, v3
	s_waitcnt_depctr 0xfff
	v_mul_f32_e32 v7, 0x3f317217, v3
	s_delay_alu instid0(VALU_DEP_1) | instskip(NEXT) | instid1(VALU_DEP_1)
	v_fma_f32 v13, 0x3f317217, v3, -v7
	v_fmac_f32_e32 v13, 0x3377d1cf, v3
	s_delay_alu instid0(VALU_DEP_1) | instskip(SKIP_2) | instid1(VALU_DEP_3)
	v_add_f32_e32 v7, v7, v13
	v_cndmask_b32_e64 v13, 0, 0x41b17218, vcc_lo
	v_cmp_gt_f32_e64 vcc_lo, 0x7f800000, |v3|
	v_cndmask_b32_e32 v3, v3, v7, vcc_lo
	s_delay_alu instid0(VALU_DEP_1) | instskip(NEXT) | instid1(VALU_DEP_1)
	v_sub_f32_e32 v3, v3, v13
	v_mul_f32_e32 v3, -2.0, v3
	s_delay_alu instid0(VALU_DEP_1) | instskip(SKIP_1) | instid1(VALU_DEP_2)
	v_mul_f32_e32 v7, 0x4f800000, v3
	v_cmp_gt_f32_e32 vcc_lo, 0xf800000, v3
	v_cndmask_b32_e32 v3, v3, v7, vcc_lo
	s_delay_alu instid0(VALU_DEP_1) | instskip(SKIP_3) | instid1(VALU_DEP_2)
	v_sqrt_f32_e32 v7, v3
	s_waitcnt_depctr 0xfff
	v_add_nc_u32_e32 v13, -1, v7
	v_add_nc_u32_e32 v37, 1, v7
	v_fma_f32 v38, -v13, v7, v3
	s_delay_alu instid0(VALU_DEP_2) | instskip(NEXT) | instid1(VALU_DEP_2)
	v_fma_f32 v39, -v37, v7, v3
	v_cmp_ge_f32_e64 s0, 0, v38
	s_delay_alu instid0(VALU_DEP_1) | instskip(NEXT) | instid1(VALU_DEP_3)
	v_cndmask_b32_e64 v7, v7, v13, s0
	v_cmp_lt_f32_e64 s0, 0, v39
	s_delay_alu instid0(VALU_DEP_1) | instskip(SKIP_1) | instid1(VALU_DEP_2)
	v_cndmask_b32_e64 v7, v7, v37, s0
	v_cmp_class_f32_e64 s0, v3, 0x260
	v_mul_f32_e32 v13, 0x37800000, v7
	s_delay_alu instid0(VALU_DEP_1) | instskip(SKIP_1) | instid1(VALU_DEP_2)
	v_cndmask_b32_e32 v13, v7, v13, vcc_lo
	v_fmaak_f32 v7, 0x30c90fdb, v4, 0x30c90fdb
	v_cndmask_b32_e64 v13, v13, v3, s0
	v_cmpx_gt_i64_e64 s[16:17], v[10:11]
	s_cbranch_execz .LBB11_34
; %bb.20:                               ;   in Loop: Header=BB11_9 Depth=1
	s_and_not1_b32 vcc_lo, exec_lo, s11
	s_cbranch_vccnz .LBB11_26
; %bb.21:                               ;   in Loop: Header=BB11_9 Depth=1
	v_mov_b32_e32 v3, 0
	s_and_not1_b32 vcc_lo, exec_lo, s29
	s_cbranch_vccnz .LBB11_30
; %bb.22:                               ;   in Loop: Header=BB11_9 Depth=1
	s_and_not1_b32 vcc_lo, exec_lo, s33
	s_mov_b32 s0, 0
	s_cbranch_vccnz .LBB11_27
; %bb.23:                               ;   in Loop: Header=BB11_9 Depth=1
	v_dual_mov_b32 v3, 0 :: v_dual_mov_b32 v4, v10
	s_mov_b32 s38, 0
	s_mov_b64 s[0:1], s[18:19]
	s_mov_b64 s[24:25], s[22:23]
.LBB11_24:                              ;   Parent Loop BB11_9 Depth=1
                                        ; =>  This Inner Loop Header: Depth=2
	s_clause 0x1
	s_load_b256 s[40:47], s[0:1], 0x4
	s_load_b128 s[48:51], s[0:1], 0x24
	s_load_b128 s[52:55], s[24:25], 0x0
	s_add_u32 s0, s0, 48
	s_addc_u32 s1, s1, 0
	s_add_i32 s38, s38, 4
	s_add_u32 s24, s24, 16
	s_addc_u32 s25, s25, 0
	s_cmp_lg_u32 s34, s38
	s_waitcnt lgkmcnt(0)
	v_mul_hi_u32 v37, s41, v4
	s_delay_alu instid0(VALU_DEP_1) | instskip(NEXT) | instid1(VALU_DEP_1)
	v_add_nc_u32_e32 v37, v4, v37
	v_lshrrev_b32_e32 v37, s42, v37
	s_delay_alu instid0(VALU_DEP_1) | instskip(SKIP_1) | instid1(VALU_DEP_2)
	v_mul_hi_u32 v38, s44, v37
	v_mul_lo_u32 v41, v37, s40
	v_add_nc_u32_e32 v38, v37, v38
	s_delay_alu instid0(VALU_DEP_2) | instskip(NEXT) | instid1(VALU_DEP_2)
	v_sub_nc_u32_e32 v41, v4, v41
	v_lshrrev_b32_e32 v38, s45, v38
	s_delay_alu instid0(VALU_DEP_2) | instskip(NEXT) | instid1(VALU_DEP_2)
	v_mul_lo_u32 v41, v41, s52
	v_mul_hi_u32 v39, s47, v38
	v_mul_lo_u32 v42, v38, s43
	s_delay_alu instid0(VALU_DEP_2) | instskip(NEXT) | instid1(VALU_DEP_2)
	v_add_nc_u32_e32 v39, v38, v39
	v_sub_nc_u32_e32 v37, v37, v42
	s_delay_alu instid0(VALU_DEP_2) | instskip(NEXT) | instid1(VALU_DEP_2)
	v_lshrrev_b32_e32 v39, s48, v39
	v_mul_lo_u32 v37, v37, s53
	s_delay_alu instid0(VALU_DEP_2) | instskip(NEXT) | instid1(VALU_DEP_2)
	v_mul_hi_u32 v40, s50, v39
	v_add3_u32 v3, v41, v3, v37
	s_delay_alu instid0(VALU_DEP_2) | instskip(NEXT) | instid1(VALU_DEP_1)
	v_add_nc_u32_e32 v40, v39, v40
	v_lshrrev_b32_e32 v4, s51, v40
	v_mul_lo_u32 v40, v39, s46
	s_delay_alu instid0(VALU_DEP_2) | instskip(NEXT) | instid1(VALU_DEP_2)
	v_mul_lo_u32 v43, v4, s49
	v_sub_nc_u32_e32 v38, v38, v40
	s_delay_alu instid0(VALU_DEP_2) | instskip(NEXT) | instid1(VALU_DEP_2)
	v_sub_nc_u32_e32 v39, v39, v43
	v_mul_lo_u32 v38, v38, s54
	s_delay_alu instid0(VALU_DEP_2) | instskip(NEXT) | instid1(VALU_DEP_1)
	v_mul_lo_u32 v39, v39, s55
	v_add3_u32 v3, v38, v3, v39
	s_cbranch_scc1 .LBB11_24
; %bb.25:                               ;   in Loop: Header=BB11_9 Depth=1
	s_mov_b32 s0, s34
	s_and_not1_b32 vcc_lo, exec_lo, s36
	s_cbranch_vccz .LBB11_28
	s_branch .LBB11_30
.LBB11_26:                              ;   in Loop: Header=BB11_9 Depth=1
                                        ; implicit-def: $vgpr3
	s_branch .LBB11_31
.LBB11_27:                              ;   in Loop: Header=BB11_9 Depth=1
	v_mov_b32_e32 v4, v10
	s_and_not1_b32 vcc_lo, exec_lo, s36
	s_cbranch_vccnz .LBB11_30
.LBB11_28:                              ;   in Loop: Header=BB11_9 Depth=1
	s_lshl_b32 s1, s0, 2
	s_mul_i32 s24, s0, 12
	s_add_u32 s0, s22, s1
	s_addc_u32 s1, s23, 0
	s_add_u32 s24, s18, s24
	s_addc_u32 s25, s19, 0
	s_mov_b32 s38, s31
	.p2align	6
.LBB11_29:                              ;   Parent Loop BB11_9 Depth=1
                                        ; =>  This Inner Loop Header: Depth=2
	s_clause 0x1
	s_load_b64 s[40:41], s[24:25], 0x4
	s_load_b32 s39, s[24:25], 0xc
	s_add_u32 s24, s24, 12
	s_addc_u32 s25, s25, 0
	s_waitcnt lgkmcnt(0)
	v_mul_hi_u32 v37, s41, v4
	s_load_b32 s41, s[0:1], 0x0
	s_add_u32 s0, s0, 4
	s_addc_u32 s1, s1, 0
	s_add_i32 s38, s38, -1
	s_delay_alu instid0(SALU_CYCLE_1) | instskip(NEXT) | instid1(VALU_DEP_1)
	s_cmp_lg_u32 s38, 0
	v_add_nc_u32_e32 v37, v4, v37
	s_delay_alu instid0(VALU_DEP_1) | instskip(NEXT) | instid1(VALU_DEP_1)
	v_lshrrev_b32_e32 v39, s39, v37
	v_mul_lo_u32 v37, v39, s40
	s_delay_alu instid0(VALU_DEP_1) | instskip(SKIP_1) | instid1(VALU_DEP_1)
	v_sub_nc_u32_e32 v4, v4, v37
	s_waitcnt lgkmcnt(0)
	v_mad_u64_u32 v[37:38], null, v4, s41, v[3:4]
	s_delay_alu instid0(VALU_DEP_1)
	v_dual_mov_b32 v4, v39 :: v_dual_mov_b32 v3, v37
	s_cbranch_scc1 .LBB11_29
.LBB11_30:                              ;   in Loop: Header=BB11_9 Depth=1
	s_cbranch_execnz .LBB11_33
.LBB11_31:                              ;   in Loop: Header=BB11_9 Depth=1
	v_mul_hi_u32 v3, v10, s6
	s_and_not1_b32 vcc_lo, exec_lo, s4
	s_delay_alu instid0(VALU_DEP_1) | instskip(NEXT) | instid1(VALU_DEP_1)
	v_add_nc_u32_e32 v3, v3, v10
	v_lshrrev_b32_e32 v4, s7, v3
	s_delay_alu instid0(VALU_DEP_1) | instskip(NEXT) | instid1(VALU_DEP_1)
	v_mul_lo_u32 v3, v4, s5
	v_sub_nc_u32_e32 v3, v10, v3
	s_delay_alu instid0(VALU_DEP_1)
	v_mul_lo_u32 v3, v3, s20
	s_cbranch_vccnz .LBB11_33
; %bb.32:                               ;   in Loop: Header=BB11_9 Depth=1
	v_mul_hi_u32 v37, s9, v4
	s_delay_alu instid0(VALU_DEP_1) | instskip(NEXT) | instid1(VALU_DEP_1)
	v_add_nc_u32_e32 v37, v4, v37
	v_lshrrev_b32_e32 v37, s10, v37
	s_delay_alu instid0(VALU_DEP_1) | instskip(NEXT) | instid1(VALU_DEP_1)
	v_mul_lo_u32 v37, v37, s8
	v_sub_nc_u32_e32 v4, v4, v37
	s_delay_alu instid0(VALU_DEP_1) | instskip(NEXT) | instid1(VALU_DEP_1)
	v_mad_u64_u32 v[37:38], null, v4, s21, v[3:4]
	v_mov_b32_e32 v3, v37
.LBB11_33:                              ;   in Loop: Header=BB11_9 Depth=1
	v_mul_f32_e32 v4, 0.15915494, v7
	s_delay_alu instid0(VALU_DEP_1) | instskip(SKIP_2) | instid1(VALU_DEP_1)
	v_sin_f32_e32 v4, v4
	s_waitcnt_depctr 0xfff
	v_mul_f32_e32 v4, v4, v13
	v_fma_f32 v4, v4, s15, s14
	s_delay_alu instid0(VALU_DEP_1) | instskip(SKIP_1) | instid1(VALU_DEP_2)
	v_mul_f32_e32 v37, 0x3fb8aa3b, v4
	v_cmp_ngt_f32_e32 vcc_lo, 0xc2ce8ed0, v4
	v_fma_f32 v38, 0x3fb8aa3b, v4, -v37
	v_rndne_f32_e32 v39, v37
	s_delay_alu instid0(VALU_DEP_1) | instskip(NEXT) | instid1(VALU_DEP_1)
	v_dual_fmac_f32 v38, 0x32a5705f, v4 :: v_dual_sub_f32 v37, v37, v39
	v_add_f32_e32 v37, v37, v38
	v_cvt_i32_f32_e32 v38, v39
	s_delay_alu instid0(VALU_DEP_2) | instskip(SKIP_2) | instid1(VALU_DEP_1)
	v_exp_f32_e32 v37, v37
	s_waitcnt_depctr 0xfff
	v_ldexp_f32 v37, v37, v38
	v_cndmask_b32_e32 v37, 0, v37, vcc_lo
	v_cmp_nlt_f32_e32 vcc_lo, 0x42b17218, v4
	s_delay_alu instid0(VALU_DEP_2) | instskip(NEXT) | instid1(VALU_DEP_1)
	v_cndmask_b32_e32 v4, 0x7f800000, v37, vcc_lo
	v_cvt_f16_f32_e32 v4, v4
	global_store_b16 v3, v4, s[12:13]
.LBB11_34:                              ;   in Loop: Header=BB11_9 Depth=1
	s_or_b32 exec_lo, exec_lo, s37
	v_add_co_u32 v3, vcc_lo, v10, s26
	v_add_co_ci_u32_e32 v4, vcc_lo, 0, v11, vcc_lo
	s_mov_b32 s37, exec_lo
	s_delay_alu instid0(VALU_DEP_1)
	v_cmpx_gt_i64_e64 s[16:17], v[3:4]
	s_cbranch_execz .LBB11_49
; %bb.35:                               ;   in Loop: Header=BB11_9 Depth=1
	s_and_not1_b32 vcc_lo, exec_lo, s11
	s_cbranch_vccnz .LBB11_41
; %bb.36:                               ;   in Loop: Header=BB11_9 Depth=1
	v_mov_b32_e32 v4, 0
	s_and_not1_b32 vcc_lo, exec_lo, s29
	s_cbranch_vccnz .LBB11_45
; %bb.37:                               ;   in Loop: Header=BB11_9 Depth=1
	s_and_not1_b32 vcc_lo, exec_lo, s33
	s_mov_b32 s0, 0
	s_cbranch_vccnz .LBB11_42
; %bb.38:                               ;   in Loop: Header=BB11_9 Depth=1
	v_dual_mov_b32 v4, 0 :: v_dual_mov_b32 v37, v3
	s_mov_b32 s38, 0
	s_mov_b64 s[0:1], s[18:19]
	s_mov_b64 s[24:25], s[22:23]
.LBB11_39:                              ;   Parent Loop BB11_9 Depth=1
                                        ; =>  This Inner Loop Header: Depth=2
	s_clause 0x1
	s_load_b256 s[40:47], s[0:1], 0x4
	s_load_b128 s[48:51], s[0:1], 0x24
	s_load_b128 s[52:55], s[24:25], 0x0
	s_add_u32 s0, s0, 48
	s_addc_u32 s1, s1, 0
	s_add_i32 s38, s38, 4
	s_add_u32 s24, s24, 16
	s_addc_u32 s25, s25, 0
	s_cmp_eq_u32 s34, s38
	s_waitcnt lgkmcnt(0)
	v_mul_hi_u32 v38, s41, v37
	s_delay_alu instid0(VALU_DEP_1) | instskip(NEXT) | instid1(VALU_DEP_1)
	v_add_nc_u32_e32 v38, v37, v38
	v_lshrrev_b32_e32 v38, s42, v38
	s_delay_alu instid0(VALU_DEP_1) | instskip(SKIP_1) | instid1(VALU_DEP_2)
	v_mul_hi_u32 v39, s44, v38
	v_mul_lo_u32 v42, v38, s40
	v_add_nc_u32_e32 v39, v38, v39
	s_delay_alu instid0(VALU_DEP_2) | instskip(NEXT) | instid1(VALU_DEP_2)
	v_sub_nc_u32_e32 v42, v37, v42
	v_lshrrev_b32_e32 v39, s45, v39
	s_delay_alu instid0(VALU_DEP_2) | instskip(NEXT) | instid1(VALU_DEP_2)
	v_mul_lo_u32 v42, v42, s52
	v_mul_hi_u32 v40, s47, v39
	v_mul_lo_u32 v43, v39, s43
	s_delay_alu instid0(VALU_DEP_2) | instskip(NEXT) | instid1(VALU_DEP_2)
	v_add_nc_u32_e32 v40, v39, v40
	v_sub_nc_u32_e32 v38, v38, v43
	s_delay_alu instid0(VALU_DEP_2) | instskip(NEXT) | instid1(VALU_DEP_2)
	v_lshrrev_b32_e32 v40, s48, v40
	v_mul_lo_u32 v38, v38, s53
	s_delay_alu instid0(VALU_DEP_2) | instskip(NEXT) | instid1(VALU_DEP_2)
	v_mul_hi_u32 v41, s50, v40
	v_add3_u32 v4, v42, v4, v38
	s_delay_alu instid0(VALU_DEP_2) | instskip(NEXT) | instid1(VALU_DEP_1)
	v_add_nc_u32_e32 v41, v40, v41
	v_lshrrev_b32_e32 v37, s51, v41
	v_mul_lo_u32 v41, v40, s46
	s_delay_alu instid0(VALU_DEP_2) | instskip(NEXT) | instid1(VALU_DEP_2)
	v_mul_lo_u32 v44, v37, s49
	v_sub_nc_u32_e32 v39, v39, v41
	s_delay_alu instid0(VALU_DEP_2) | instskip(NEXT) | instid1(VALU_DEP_2)
	v_sub_nc_u32_e32 v40, v40, v44
	v_mul_lo_u32 v39, v39, s54
	s_delay_alu instid0(VALU_DEP_2) | instskip(NEXT) | instid1(VALU_DEP_1)
	v_mul_lo_u32 v40, v40, s55
	v_add3_u32 v4, v39, v4, v40
	s_cbranch_scc0 .LBB11_39
; %bb.40:                               ;   in Loop: Header=BB11_9 Depth=1
	s_mov_b32 s0, s34
	s_and_not1_b32 vcc_lo, exec_lo, s36
	s_cbranch_vccz .LBB11_43
	s_branch .LBB11_45
.LBB11_41:                              ;   in Loop: Header=BB11_9 Depth=1
                                        ; implicit-def: $vgpr4
	s_branch .LBB11_46
.LBB11_42:                              ;   in Loop: Header=BB11_9 Depth=1
	v_mov_b32_e32 v37, v3
	s_and_not1_b32 vcc_lo, exec_lo, s36
	s_cbranch_vccnz .LBB11_45
.LBB11_43:                              ;   in Loop: Header=BB11_9 Depth=1
	s_lshl_b32 s1, s0, 2
	s_mul_i32 s24, s0, 12
	s_add_u32 s0, s22, s1
	s_addc_u32 s1, s23, 0
	s_add_u32 s24, s18, s24
	s_addc_u32 s25, s19, 0
	s_mov_b32 s38, s31
	.p2align	6
.LBB11_44:                              ;   Parent Loop BB11_9 Depth=1
                                        ; =>  This Inner Loop Header: Depth=2
	s_clause 0x1
	s_load_b64 s[40:41], s[24:25], 0x4
	s_load_b32 s39, s[24:25], 0xc
	s_add_u32 s24, s24, 12
	s_addc_u32 s25, s25, 0
	s_waitcnt lgkmcnt(0)
	v_mul_hi_u32 v38, s41, v37
	s_load_b32 s41, s[0:1], 0x0
	s_add_u32 s0, s0, 4
	s_addc_u32 s1, s1, 0
	s_add_i32 s38, s38, -1
	s_delay_alu instid0(SALU_CYCLE_1) | instskip(NEXT) | instid1(VALU_DEP_1)
	s_cmp_lg_u32 s38, 0
	v_add_nc_u32_e32 v38, v37, v38
	s_delay_alu instid0(VALU_DEP_1) | instskip(NEXT) | instid1(VALU_DEP_1)
	v_lshrrev_b32_e32 v40, s39, v38
	v_mul_lo_u32 v38, v40, s40
	s_delay_alu instid0(VALU_DEP_1) | instskip(SKIP_1) | instid1(VALU_DEP_1)
	v_sub_nc_u32_e32 v37, v37, v38
	s_waitcnt lgkmcnt(0)
	v_mad_u64_u32 v[38:39], null, v37, s41, v[4:5]
	s_delay_alu instid0(VALU_DEP_1)
	v_dual_mov_b32 v37, v40 :: v_dual_mov_b32 v4, v38
	s_cbranch_scc1 .LBB11_44
.LBB11_45:                              ;   in Loop: Header=BB11_9 Depth=1
	s_cbranch_execnz .LBB11_48
.LBB11_46:                              ;   in Loop: Header=BB11_9 Depth=1
	v_mul_hi_u32 v4, v3, s6
	s_and_not1_b32 vcc_lo, exec_lo, s4
	s_delay_alu instid0(VALU_DEP_1) | instskip(NEXT) | instid1(VALU_DEP_1)
	v_add_nc_u32_e32 v4, v4, v3
	v_lshrrev_b32_e32 v37, s7, v4
	s_delay_alu instid0(VALU_DEP_1) | instskip(NEXT) | instid1(VALU_DEP_1)
	v_mul_lo_u32 v4, v37, s5
	v_sub_nc_u32_e32 v3, v3, v4
	s_delay_alu instid0(VALU_DEP_1)
	v_mul_lo_u32 v4, v3, s20
	s_cbranch_vccnz .LBB11_48
; %bb.47:                               ;   in Loop: Header=BB11_9 Depth=1
	v_mul_hi_u32 v3, s9, v37
	s_delay_alu instid0(VALU_DEP_1) | instskip(NEXT) | instid1(VALU_DEP_1)
	v_add_nc_u32_e32 v3, v37, v3
	v_lshrrev_b32_e32 v3, s10, v3
	s_delay_alu instid0(VALU_DEP_1) | instskip(NEXT) | instid1(VALU_DEP_1)
	v_mul_lo_u32 v3, v3, s8
	v_sub_nc_u32_e32 v3, v37, v3
	s_delay_alu instid0(VALU_DEP_1) | instskip(NEXT) | instid1(VALU_DEP_1)
	v_mad_u64_u32 v[37:38], null, v3, s21, v[4:5]
	v_mov_b32_e32 v4, v37
.LBB11_48:                              ;   in Loop: Header=BB11_9 Depth=1
	v_mul_f32_e32 v3, 0.15915494, v7
	s_delay_alu instid0(VALU_DEP_1) | instskip(SKIP_2) | instid1(VALU_DEP_1)
	v_cos_f32_e32 v3, v3
	s_waitcnt_depctr 0xfff
	v_mul_f32_e32 v3, v3, v13
	v_fma_f32 v3, v3, s15, s14
	s_delay_alu instid0(VALU_DEP_1) | instskip(SKIP_1) | instid1(VALU_DEP_2)
	v_mul_f32_e32 v7, 0x3fb8aa3b, v3
	v_cmp_ngt_f32_e32 vcc_lo, 0xc2ce8ed0, v3
	v_fma_f32 v13, 0x3fb8aa3b, v3, -v7
	v_rndne_f32_e32 v37, v7
	s_delay_alu instid0(VALU_DEP_2) | instskip(NEXT) | instid1(VALU_DEP_2)
	v_fmac_f32_e32 v13, 0x32a5705f, v3
	v_sub_f32_e32 v7, v7, v37
	s_delay_alu instid0(VALU_DEP_1) | instskip(SKIP_1) | instid1(VALU_DEP_2)
	v_add_f32_e32 v7, v7, v13
	v_cvt_i32_f32_e32 v13, v37
	v_exp_f32_e32 v7, v7
	s_waitcnt_depctr 0xfff
	v_ldexp_f32 v7, v7, v13
	s_delay_alu instid0(VALU_DEP_1) | instskip(SKIP_1) | instid1(VALU_DEP_2)
	v_cndmask_b32_e32 v7, 0, v7, vcc_lo
	v_cmp_nlt_f32_e32 vcc_lo, 0x42b17218, v3
	v_cndmask_b32_e32 v3, 0x7f800000, v7, vcc_lo
	s_delay_alu instid0(VALU_DEP_1)
	v_cvt_f16_f32_e32 v3, v3
	global_store_b16 v4, v3, s[12:13]
.LBB11_49:                              ;   in Loop: Header=BB11_9 Depth=1
	s_or_b32 exec_lo, exec_lo, s37
	v_cvt_f32_u32_e32 v3, v5
	v_cvt_f32_u32_e32 v6, v6
	s_mov_b32 s37, exec_lo
	s_delay_alu instid0(VALU_DEP_2) | instskip(NEXT) | instid1(VALU_DEP_1)
	v_fmaak_f32 v3, 0x2f800000, v3, 0x2f800000
	v_cmp_gt_f32_e32 vcc_lo, 0x800000, v3
	v_cndmask_b32_e64 v4, 1.0, 0x4f800000, vcc_lo
	s_delay_alu instid0(VALU_DEP_1) | instskip(NEXT) | instid1(VALU_DEP_1)
	v_mul_f32_e32 v3, v3, v4
	v_log_f32_e32 v3, v3
	s_waitcnt_depctr 0xfff
	v_mul_f32_e32 v4, 0x3f317217, v3
	s_delay_alu instid0(VALU_DEP_1) | instskip(NEXT) | instid1(VALU_DEP_1)
	v_fma_f32 v5, 0x3f317217, v3, -v4
	v_fmac_f32_e32 v5, 0x3377d1cf, v3
	s_delay_alu instid0(VALU_DEP_1) | instskip(SKIP_2) | instid1(VALU_DEP_3)
	v_add_f32_e32 v4, v4, v5
	v_cndmask_b32_e64 v5, 0, 0x41b17218, vcc_lo
	v_cmp_gt_f32_e64 vcc_lo, 0x7f800000, |v3|
	v_cndmask_b32_e32 v3, v3, v4, vcc_lo
	s_delay_alu instid0(VALU_DEP_1) | instskip(NEXT) | instid1(VALU_DEP_1)
	v_sub_f32_e32 v3, v3, v5
	v_mul_f32_e32 v3, -2.0, v3
	s_delay_alu instid0(VALU_DEP_1) | instskip(SKIP_1) | instid1(VALU_DEP_1)
	v_cmp_gt_f32_e32 vcc_lo, 0xf800000, v3
	v_mul_f32_e32 v4, 0x4f800000, v3
	v_cndmask_b32_e32 v7, v3, v4, vcc_lo
	s_delay_alu instid0(VALU_DEP_1) | instskip(SKIP_3) | instid1(VALU_DEP_2)
	v_sqrt_f32_e32 v3, v7
	s_waitcnt_depctr 0xfff
	v_add_nc_u32_e32 v4, -1, v3
	v_add_nc_u32_e32 v5, 1, v3
	v_fma_f32 v13, -v4, v3, v7
	s_delay_alu instid0(VALU_DEP_2) | instskip(NEXT) | instid1(VALU_DEP_2)
	v_fma_f32 v37, -v5, v3, v7
	v_cmp_ge_f32_e64 s0, 0, v13
	s_delay_alu instid0(VALU_DEP_1) | instskip(NEXT) | instid1(VALU_DEP_3)
	v_cndmask_b32_e64 v3, v3, v4, s0
	v_cmp_lt_f32_e64 s0, 0, v37
	s_delay_alu instid0(VALU_DEP_1) | instskip(SKIP_1) | instid1(VALU_DEP_1)
	v_cndmask_b32_e64 v5, v3, v5, s0
	v_add_co_u32 v3, s0, v10, s30
	v_add_co_ci_u32_e64 v4, s0, 0, v11, s0
	s_delay_alu instid0(VALU_DEP_3) | instskip(SKIP_1) | instid1(VALU_DEP_2)
	v_mul_f32_e32 v13, 0x37800000, v5
	v_cmp_class_f32_e64 s0, v7, 0x260
	v_cndmask_b32_e32 v13, v5, v13, vcc_lo
	v_fmaak_f32 v5, 0x30c90fdb, v6, 0x30c90fdb
	s_delay_alu instid0(VALU_DEP_2)
	v_cndmask_b32_e64 v6, v13, v7, s0
	v_cmpx_gt_i64_e64 s[16:17], v[3:4]
	s_cbranch_execz .LBB11_64
; %bb.50:                               ;   in Loop: Header=BB11_9 Depth=1
	s_and_not1_b32 vcc_lo, exec_lo, s11
	s_cbranch_vccnz .LBB11_56
; %bb.51:                               ;   in Loop: Header=BB11_9 Depth=1
	v_mov_b32_e32 v4, 0
	s_and_not1_b32 vcc_lo, exec_lo, s29
	s_cbranch_vccnz .LBB11_60
; %bb.52:                               ;   in Loop: Header=BB11_9 Depth=1
	s_and_not1_b32 vcc_lo, exec_lo, s33
	s_mov_b32 s0, 0
	s_cbranch_vccnz .LBB11_57
; %bb.53:                               ;   in Loop: Header=BB11_9 Depth=1
	v_dual_mov_b32 v4, 0 :: v_dual_mov_b32 v7, v3
	s_mov_b32 s38, 0
	s_mov_b64 s[0:1], s[18:19]
	s_mov_b64 s[24:25], s[22:23]
.LBB11_54:                              ;   Parent Loop BB11_9 Depth=1
                                        ; =>  This Inner Loop Header: Depth=2
	s_clause 0x1
	s_load_b256 s[40:47], s[0:1], 0x4
	s_load_b128 s[48:51], s[0:1], 0x24
	s_load_b128 s[52:55], s[24:25], 0x0
	s_add_u32 s0, s0, 48
	s_addc_u32 s1, s1, 0
	s_add_i32 s38, s38, 4
	s_add_u32 s24, s24, 16
	s_addc_u32 s25, s25, 0
	s_cmp_eq_u32 s34, s38
	s_waitcnt lgkmcnt(0)
	v_mul_hi_u32 v13, s41, v7
	s_delay_alu instid0(VALU_DEP_1) | instskip(NEXT) | instid1(VALU_DEP_1)
	v_add_nc_u32_e32 v13, v7, v13
	v_lshrrev_b32_e32 v13, s42, v13
	s_delay_alu instid0(VALU_DEP_1) | instskip(SKIP_1) | instid1(VALU_DEP_2)
	v_mul_hi_u32 v37, s44, v13
	v_mul_lo_u32 v40, v13, s40
	v_add_nc_u32_e32 v37, v13, v37
	s_delay_alu instid0(VALU_DEP_2) | instskip(NEXT) | instid1(VALU_DEP_2)
	v_sub_nc_u32_e32 v40, v7, v40
	v_lshrrev_b32_e32 v37, s45, v37
	s_delay_alu instid0(VALU_DEP_2) | instskip(NEXT) | instid1(VALU_DEP_2)
	v_mul_lo_u32 v40, v40, s52
	v_mul_hi_u32 v38, s47, v37
	v_mul_lo_u32 v41, v37, s43
	s_delay_alu instid0(VALU_DEP_2) | instskip(NEXT) | instid1(VALU_DEP_2)
	v_add_nc_u32_e32 v38, v37, v38
	v_sub_nc_u32_e32 v13, v13, v41
	s_delay_alu instid0(VALU_DEP_2) | instskip(NEXT) | instid1(VALU_DEP_2)
	v_lshrrev_b32_e32 v38, s48, v38
	v_mul_lo_u32 v13, v13, s53
	s_delay_alu instid0(VALU_DEP_2) | instskip(NEXT) | instid1(VALU_DEP_2)
	v_mul_hi_u32 v39, s50, v38
	v_add3_u32 v4, v40, v4, v13
	s_delay_alu instid0(VALU_DEP_2) | instskip(NEXT) | instid1(VALU_DEP_1)
	v_add_nc_u32_e32 v39, v38, v39
	v_lshrrev_b32_e32 v7, s51, v39
	v_mul_lo_u32 v39, v38, s46
	s_delay_alu instid0(VALU_DEP_2) | instskip(NEXT) | instid1(VALU_DEP_2)
	v_mul_lo_u32 v42, v7, s49
	v_sub_nc_u32_e32 v37, v37, v39
	s_delay_alu instid0(VALU_DEP_2) | instskip(NEXT) | instid1(VALU_DEP_2)
	v_sub_nc_u32_e32 v38, v38, v42
	v_mul_lo_u32 v37, v37, s54
	s_delay_alu instid0(VALU_DEP_2) | instskip(NEXT) | instid1(VALU_DEP_1)
	v_mul_lo_u32 v38, v38, s55
	v_add3_u32 v4, v37, v4, v38
	s_cbranch_scc0 .LBB11_54
; %bb.55:                               ;   in Loop: Header=BB11_9 Depth=1
	s_mov_b32 s0, s34
	s_and_not1_b32 vcc_lo, exec_lo, s36
	s_cbranch_vccz .LBB11_58
	s_branch .LBB11_60
.LBB11_56:                              ;   in Loop: Header=BB11_9 Depth=1
                                        ; implicit-def: $vgpr4
	s_branch .LBB11_61
.LBB11_57:                              ;   in Loop: Header=BB11_9 Depth=1
	v_mov_b32_e32 v7, v3
	s_and_not1_b32 vcc_lo, exec_lo, s36
	s_cbranch_vccnz .LBB11_60
.LBB11_58:                              ;   in Loop: Header=BB11_9 Depth=1
	s_lshl_b32 s1, s0, 2
	s_mul_i32 s24, s0, 12
	s_add_u32 s0, s22, s1
	s_addc_u32 s1, s23, 0
	s_add_u32 s24, s18, s24
	s_addc_u32 s25, s19, 0
	s_mov_b32 s38, s31
	.p2align	6
.LBB11_59:                              ;   Parent Loop BB11_9 Depth=1
                                        ; =>  This Inner Loop Header: Depth=2
	s_clause 0x1
	s_load_b64 s[40:41], s[24:25], 0x4
	s_load_b32 s39, s[24:25], 0xc
	s_add_u32 s24, s24, 12
	s_addc_u32 s25, s25, 0
	s_waitcnt lgkmcnt(0)
	v_mul_hi_u32 v13, s41, v7
	s_load_b32 s41, s[0:1], 0x0
	s_add_u32 s0, s0, 4
	s_addc_u32 s1, s1, 0
	s_add_i32 s38, s38, -1
	s_delay_alu instid0(SALU_CYCLE_1) | instskip(NEXT) | instid1(VALU_DEP_1)
	s_cmp_lg_u32 s38, 0
	v_add_nc_u32_e32 v13, v7, v13
	s_delay_alu instid0(VALU_DEP_1) | instskip(NEXT) | instid1(VALU_DEP_1)
	v_lshrrev_b32_e32 v13, s39, v13
	v_mul_lo_u32 v37, v13, s40
	s_delay_alu instid0(VALU_DEP_1) | instskip(SKIP_1) | instid1(VALU_DEP_1)
	v_sub_nc_u32_e32 v7, v7, v37
	s_waitcnt lgkmcnt(0)
	v_mad_u64_u32 v[37:38], null, v7, s41, v[4:5]
	v_mov_b32_e32 v7, v13
	s_delay_alu instid0(VALU_DEP_2)
	v_mov_b32_e32 v4, v37
	s_cbranch_scc1 .LBB11_59
.LBB11_60:                              ;   in Loop: Header=BB11_9 Depth=1
	s_cbranch_execnz .LBB11_63
.LBB11_61:                              ;   in Loop: Header=BB11_9 Depth=1
	v_mul_hi_u32 v4, v3, s6
	s_and_not1_b32 vcc_lo, exec_lo, s4
	s_delay_alu instid0(VALU_DEP_1) | instskip(NEXT) | instid1(VALU_DEP_1)
	v_add_nc_u32_e32 v4, v4, v3
	v_lshrrev_b32_e32 v7, s7, v4
	s_delay_alu instid0(VALU_DEP_1) | instskip(NEXT) | instid1(VALU_DEP_1)
	v_mul_lo_u32 v4, v7, s5
	v_sub_nc_u32_e32 v3, v3, v4
	s_delay_alu instid0(VALU_DEP_1)
	v_mul_lo_u32 v4, v3, s20
	s_cbranch_vccnz .LBB11_63
; %bb.62:                               ;   in Loop: Header=BB11_9 Depth=1
	v_mul_hi_u32 v3, s9, v7
	s_delay_alu instid0(VALU_DEP_1) | instskip(NEXT) | instid1(VALU_DEP_1)
	v_add_nc_u32_e32 v3, v7, v3
	v_lshrrev_b32_e32 v3, s10, v3
	s_delay_alu instid0(VALU_DEP_1) | instskip(NEXT) | instid1(VALU_DEP_1)
	v_mul_lo_u32 v3, v3, s8
	v_sub_nc_u32_e32 v3, v7, v3
	s_delay_alu instid0(VALU_DEP_1) | instskip(NEXT) | instid1(VALU_DEP_1)
	v_mad_u64_u32 v[37:38], null, v3, s21, v[4:5]
	v_mov_b32_e32 v4, v37
.LBB11_63:                              ;   in Loop: Header=BB11_9 Depth=1
	v_mul_f32_e32 v3, 0.15915494, v5
	s_delay_alu instid0(VALU_DEP_1) | instskip(SKIP_2) | instid1(VALU_DEP_1)
	v_sin_f32_e32 v3, v3
	s_waitcnt_depctr 0xfff
	v_mul_f32_e32 v3, v3, v6
	v_fma_f32 v3, v3, s15, s14
	s_delay_alu instid0(VALU_DEP_1) | instskip(SKIP_1) | instid1(VALU_DEP_2)
	v_mul_f32_e32 v7, 0x3fb8aa3b, v3
	v_cmp_ngt_f32_e32 vcc_lo, 0xc2ce8ed0, v3
	v_fma_f32 v13, 0x3fb8aa3b, v3, -v7
	v_rndne_f32_e32 v37, v7
	s_delay_alu instid0(VALU_DEP_2) | instskip(NEXT) | instid1(VALU_DEP_2)
	v_fmac_f32_e32 v13, 0x32a5705f, v3
	v_sub_f32_e32 v7, v7, v37
	s_delay_alu instid0(VALU_DEP_1) | instskip(SKIP_1) | instid1(VALU_DEP_2)
	v_add_f32_e32 v7, v7, v13
	v_cvt_i32_f32_e32 v13, v37
	v_exp_f32_e32 v7, v7
	s_waitcnt_depctr 0xfff
	v_ldexp_f32 v7, v7, v13
	s_delay_alu instid0(VALU_DEP_1) | instskip(SKIP_1) | instid1(VALU_DEP_2)
	v_cndmask_b32_e32 v7, 0, v7, vcc_lo
	v_cmp_nlt_f32_e32 vcc_lo, 0x42b17218, v3
	v_cndmask_b32_e32 v3, 0x7f800000, v7, vcc_lo
	s_delay_alu instid0(VALU_DEP_1)
	v_cvt_f16_f32_e32 v3, v3
	global_store_b16 v4, v3, s[12:13]
.LBB11_64:                              ;   in Loop: Header=BB11_9 Depth=1
	s_or_b32 exec_lo, exec_lo, s37
	v_add_co_u32 v3, vcc_lo, v10, s35
	v_add_co_ci_u32_e32 v4, vcc_lo, 0, v11, vcc_lo
	s_mov_b32 s37, exec_lo
	s_delay_alu instid0(VALU_DEP_1)
	v_cmpx_gt_i64_e64 s[16:17], v[3:4]
	s_cbranch_execz .LBB11_8
; %bb.65:                               ;   in Loop: Header=BB11_9 Depth=1
	s_and_not1_b32 vcc_lo, exec_lo, s11
	s_cbranch_vccnz .LBB11_71
; %bb.66:                               ;   in Loop: Header=BB11_9 Depth=1
	v_mov_b32_e32 v4, 0
	s_and_not1_b32 vcc_lo, exec_lo, s29
	s_cbranch_vccnz .LBB11_75
; %bb.67:                               ;   in Loop: Header=BB11_9 Depth=1
	s_and_not1_b32 vcc_lo, exec_lo, s33
	s_mov_b32 s0, 0
	s_cbranch_vccnz .LBB11_72
; %bb.68:                               ;   in Loop: Header=BB11_9 Depth=1
	v_dual_mov_b32 v4, 0 :: v_dual_mov_b32 v7, v3
	s_mov_b32 s38, 0
	s_mov_b64 s[0:1], s[18:19]
	s_mov_b64 s[24:25], s[22:23]
.LBB11_69:                              ;   Parent Loop BB11_9 Depth=1
                                        ; =>  This Inner Loop Header: Depth=2
	s_clause 0x1
	s_load_b256 s[40:47], s[0:1], 0x4
	s_load_b128 s[48:51], s[0:1], 0x24
	s_load_b128 s[52:55], s[24:25], 0x0
	s_add_u32 s0, s0, 48
	s_addc_u32 s1, s1, 0
	s_add_i32 s38, s38, 4
	s_add_u32 s24, s24, 16
	s_addc_u32 s25, s25, 0
	s_cmp_eq_u32 s34, s38
	s_waitcnt lgkmcnt(0)
	v_mul_hi_u32 v13, s41, v7
	s_delay_alu instid0(VALU_DEP_1) | instskip(NEXT) | instid1(VALU_DEP_1)
	v_add_nc_u32_e32 v13, v7, v13
	v_lshrrev_b32_e32 v13, s42, v13
	s_delay_alu instid0(VALU_DEP_1) | instskip(SKIP_1) | instid1(VALU_DEP_2)
	v_mul_hi_u32 v37, s44, v13
	v_mul_lo_u32 v40, v13, s40
	v_add_nc_u32_e32 v37, v13, v37
	s_delay_alu instid0(VALU_DEP_2) | instskip(NEXT) | instid1(VALU_DEP_2)
	v_sub_nc_u32_e32 v40, v7, v40
	v_lshrrev_b32_e32 v37, s45, v37
	s_delay_alu instid0(VALU_DEP_2) | instskip(NEXT) | instid1(VALU_DEP_2)
	v_mul_lo_u32 v40, v40, s52
	v_mul_hi_u32 v38, s47, v37
	v_mul_lo_u32 v41, v37, s43
	s_delay_alu instid0(VALU_DEP_2) | instskip(NEXT) | instid1(VALU_DEP_2)
	v_add_nc_u32_e32 v38, v37, v38
	v_sub_nc_u32_e32 v13, v13, v41
	s_delay_alu instid0(VALU_DEP_2) | instskip(NEXT) | instid1(VALU_DEP_2)
	v_lshrrev_b32_e32 v38, s48, v38
	v_mul_lo_u32 v13, v13, s53
	s_delay_alu instid0(VALU_DEP_2) | instskip(NEXT) | instid1(VALU_DEP_2)
	v_mul_hi_u32 v39, s50, v38
	v_add3_u32 v4, v40, v4, v13
	s_delay_alu instid0(VALU_DEP_2) | instskip(NEXT) | instid1(VALU_DEP_1)
	v_add_nc_u32_e32 v39, v38, v39
	v_lshrrev_b32_e32 v7, s51, v39
	v_mul_lo_u32 v39, v38, s46
	s_delay_alu instid0(VALU_DEP_2) | instskip(NEXT) | instid1(VALU_DEP_2)
	v_mul_lo_u32 v42, v7, s49
	v_sub_nc_u32_e32 v37, v37, v39
	s_delay_alu instid0(VALU_DEP_2) | instskip(NEXT) | instid1(VALU_DEP_2)
	v_sub_nc_u32_e32 v38, v38, v42
	v_mul_lo_u32 v37, v37, s54
	s_delay_alu instid0(VALU_DEP_2) | instskip(NEXT) | instid1(VALU_DEP_1)
	v_mul_lo_u32 v38, v38, s55
	v_add3_u32 v4, v37, v4, v38
	s_cbranch_scc0 .LBB11_69
; %bb.70:                               ;   in Loop: Header=BB11_9 Depth=1
	s_mov_b32 s0, s34
	s_and_not1_b32 vcc_lo, exec_lo, s36
	s_cbranch_vccz .LBB11_73
	s_branch .LBB11_75
.LBB11_71:                              ;   in Loop: Header=BB11_9 Depth=1
                                        ; implicit-def: $vgpr4
	s_branch .LBB11_76
.LBB11_72:                              ;   in Loop: Header=BB11_9 Depth=1
	v_mov_b32_e32 v7, v3
	s_and_not1_b32 vcc_lo, exec_lo, s36
	s_cbranch_vccnz .LBB11_75
.LBB11_73:                              ;   in Loop: Header=BB11_9 Depth=1
	s_lshl_b32 s1, s0, 2
	s_mul_i32 s24, s0, 12
	s_add_u32 s0, s22, s1
	s_addc_u32 s1, s23, 0
	s_add_u32 s24, s18, s24
	s_addc_u32 s25, s19, 0
	s_mov_b32 s38, s31
	.p2align	6
.LBB11_74:                              ;   Parent Loop BB11_9 Depth=1
                                        ; =>  This Inner Loop Header: Depth=2
	s_clause 0x1
	s_load_b64 s[40:41], s[24:25], 0x4
	s_load_b32 s39, s[24:25], 0xc
	s_add_u32 s24, s24, 12
	s_addc_u32 s25, s25, 0
	s_waitcnt lgkmcnt(0)
	v_mul_hi_u32 v13, s41, v7
	s_load_b32 s41, s[0:1], 0x0
	s_add_u32 s0, s0, 4
	s_addc_u32 s1, s1, 0
	s_add_i32 s38, s38, -1
	s_delay_alu instid0(SALU_CYCLE_1) | instskip(NEXT) | instid1(VALU_DEP_1)
	s_cmp_lg_u32 s38, 0
	v_add_nc_u32_e32 v13, v7, v13
	s_delay_alu instid0(VALU_DEP_1) | instskip(NEXT) | instid1(VALU_DEP_1)
	v_lshrrev_b32_e32 v13, s39, v13
	v_mul_lo_u32 v37, v13, s40
	s_delay_alu instid0(VALU_DEP_1) | instskip(SKIP_1) | instid1(VALU_DEP_1)
	v_sub_nc_u32_e32 v7, v7, v37
	s_waitcnt lgkmcnt(0)
	v_mad_u64_u32 v[37:38], null, v7, s41, v[4:5]
	v_mov_b32_e32 v7, v13
	s_delay_alu instid0(VALU_DEP_2)
	v_mov_b32_e32 v4, v37
	s_cbranch_scc1 .LBB11_74
.LBB11_75:                              ;   in Loop: Header=BB11_9 Depth=1
	s_cbranch_execnz .LBB11_7
.LBB11_76:                              ;   in Loop: Header=BB11_9 Depth=1
	v_mul_hi_u32 v4, v3, s6
	s_and_not1_b32 vcc_lo, exec_lo, s4
	s_delay_alu instid0(VALU_DEP_1) | instskip(NEXT) | instid1(VALU_DEP_1)
	v_add_nc_u32_e32 v4, v4, v3
	v_lshrrev_b32_e32 v7, s7, v4
	s_delay_alu instid0(VALU_DEP_1) | instskip(NEXT) | instid1(VALU_DEP_1)
	v_mul_lo_u32 v4, v7, s5
	v_sub_nc_u32_e32 v3, v3, v4
	s_delay_alu instid0(VALU_DEP_1)
	v_mul_lo_u32 v4, v3, s20
	s_cbranch_vccnz .LBB11_7
; %bb.77:                               ;   in Loop: Header=BB11_9 Depth=1
	v_mul_hi_u32 v3, s9, v7
	s_delay_alu instid0(VALU_DEP_1) | instskip(NEXT) | instid1(VALU_DEP_1)
	v_add_nc_u32_e32 v3, v7, v3
	v_lshrrev_b32_e32 v3, s10, v3
	s_delay_alu instid0(VALU_DEP_1) | instskip(NEXT) | instid1(VALU_DEP_1)
	v_mul_lo_u32 v3, v3, s8
	v_sub_nc_u32_e32 v3, v7, v3
	s_delay_alu instid0(VALU_DEP_1) | instskip(NEXT) | instid1(VALU_DEP_1)
	v_mad_u64_u32 v[37:38], null, v3, s21, v[4:5]
	v_mov_b32_e32 v4, v37
	s_branch .LBB11_7
.LBB11_78:
	s_endpgm
.LBB11_79:
                                        ; implicit-def: $sgpr2_sgpr3
	s_branch .LBB11_4
	.section	.rodata,"a",@progbits
	.p2align	6, 0x0
	.amdhsa_kernel _ZN2at6native12_GLOBAL__N_143distribution_elementwise_grid_stride_kernelIfLi4EZNS0_9templates4cuda20normal_and_transformIN3c104HalfEfPNS_17CUDAGeneratorImplEZZZNS4_17log_normal_kernelIS9_EEvRNS_18TensorIteratorBaseEddT_ENKUlvE_clEvENKUlvE1_clEvEUlfE_EEvSC_T1_T2_EUlP25hiprandStatePhilox4_32_10E0_ZNS1_27distribution_nullary_kernelIS7_f15HIP_vector_typeIfLj4EES9_SL_SG_EEvSC_SI_RKT3_T4_EUlifE0_EEvlNS_15PhiloxCudaStateESH_SI_
		.amdhsa_group_segment_fixed_size 0
		.amdhsa_private_segment_fixed_size 0
		.amdhsa_kernarg_size 584
		.amdhsa_user_sgpr_count 15
		.amdhsa_user_sgpr_dispatch_ptr 0
		.amdhsa_user_sgpr_queue_ptr 0
		.amdhsa_user_sgpr_kernarg_segment_ptr 1
		.amdhsa_user_sgpr_dispatch_id 0
		.amdhsa_user_sgpr_private_segment_size 0
		.amdhsa_wavefront_size32 1
		.amdhsa_uses_dynamic_stack 0
		.amdhsa_enable_private_segment 0
		.amdhsa_system_sgpr_workgroup_id_x 1
		.amdhsa_system_sgpr_workgroup_id_y 0
		.amdhsa_system_sgpr_workgroup_id_z 0
		.amdhsa_system_sgpr_workgroup_info 0
		.amdhsa_system_vgpr_workitem_id 0
		.amdhsa_next_free_vgpr 45
		.amdhsa_next_free_sgpr 56
		.amdhsa_reserve_vcc 1
		.amdhsa_float_round_mode_32 0
		.amdhsa_float_round_mode_16_64 0
		.amdhsa_float_denorm_mode_32 3
		.amdhsa_float_denorm_mode_16_64 3
		.amdhsa_dx10_clamp 1
		.amdhsa_ieee_mode 1
		.amdhsa_fp16_overflow 0
		.amdhsa_workgroup_processor_mode 1
		.amdhsa_memory_ordered 1
		.amdhsa_forward_progress 0
		.amdhsa_shared_vgpr_count 0
		.amdhsa_exception_fp_ieee_invalid_op 0
		.amdhsa_exception_fp_denorm_src 0
		.amdhsa_exception_fp_ieee_div_zero 0
		.amdhsa_exception_fp_ieee_overflow 0
		.amdhsa_exception_fp_ieee_underflow 0
		.amdhsa_exception_fp_ieee_inexact 0
		.amdhsa_exception_int_div_zero 0
	.end_amdhsa_kernel
	.section	.text._ZN2at6native12_GLOBAL__N_143distribution_elementwise_grid_stride_kernelIfLi4EZNS0_9templates4cuda20normal_and_transformIN3c104HalfEfPNS_17CUDAGeneratorImplEZZZNS4_17log_normal_kernelIS9_EEvRNS_18TensorIteratorBaseEddT_ENKUlvE_clEvENKUlvE1_clEvEUlfE_EEvSC_T1_T2_EUlP25hiprandStatePhilox4_32_10E0_ZNS1_27distribution_nullary_kernelIS7_f15HIP_vector_typeIfLj4EES9_SL_SG_EEvSC_SI_RKT3_T4_EUlifE0_EEvlNS_15PhiloxCudaStateESH_SI_,"axG",@progbits,_ZN2at6native12_GLOBAL__N_143distribution_elementwise_grid_stride_kernelIfLi4EZNS0_9templates4cuda20normal_and_transformIN3c104HalfEfPNS_17CUDAGeneratorImplEZZZNS4_17log_normal_kernelIS9_EEvRNS_18TensorIteratorBaseEddT_ENKUlvE_clEvENKUlvE1_clEvEUlfE_EEvSC_T1_T2_EUlP25hiprandStatePhilox4_32_10E0_ZNS1_27distribution_nullary_kernelIS7_f15HIP_vector_typeIfLj4EES9_SL_SG_EEvSC_SI_RKT3_T4_EUlifE0_EEvlNS_15PhiloxCudaStateESH_SI_,comdat
.Lfunc_end11:
	.size	_ZN2at6native12_GLOBAL__N_143distribution_elementwise_grid_stride_kernelIfLi4EZNS0_9templates4cuda20normal_and_transformIN3c104HalfEfPNS_17CUDAGeneratorImplEZZZNS4_17log_normal_kernelIS9_EEvRNS_18TensorIteratorBaseEddT_ENKUlvE_clEvENKUlvE1_clEvEUlfE_EEvSC_T1_T2_EUlP25hiprandStatePhilox4_32_10E0_ZNS1_27distribution_nullary_kernelIS7_f15HIP_vector_typeIfLj4EES9_SL_SG_EEvSC_SI_RKT3_T4_EUlifE0_EEvlNS_15PhiloxCudaStateESH_SI_, .Lfunc_end11-_ZN2at6native12_GLOBAL__N_143distribution_elementwise_grid_stride_kernelIfLi4EZNS0_9templates4cuda20normal_and_transformIN3c104HalfEfPNS_17CUDAGeneratorImplEZZZNS4_17log_normal_kernelIS9_EEvRNS_18TensorIteratorBaseEddT_ENKUlvE_clEvENKUlvE1_clEvEUlfE_EEvSC_T1_T2_EUlP25hiprandStatePhilox4_32_10E0_ZNS1_27distribution_nullary_kernelIS7_f15HIP_vector_typeIfLj4EES9_SL_SG_EEvSC_SI_RKT3_T4_EUlifE0_EEvlNS_15PhiloxCudaStateESH_SI_
                                        ; -- End function
	.section	.AMDGPU.csdata,"",@progbits
; Kernel info:
; codeLenInByte = 6232
; NumSgprs: 58
; NumVgprs: 45
; ScratchSize: 0
; MemoryBound: 0
; FloatMode: 240
; IeeeMode: 1
; LDSByteSize: 0 bytes/workgroup (compile time only)
; SGPRBlocks: 7
; VGPRBlocks: 5
; NumSGPRsForWavesPerEU: 58
; NumVGPRsForWavesPerEU: 45
; Occupancy: 16
; WaveLimiterHint : 1
; COMPUTE_PGM_RSRC2:SCRATCH_EN: 0
; COMPUTE_PGM_RSRC2:USER_SGPR: 15
; COMPUTE_PGM_RSRC2:TRAP_HANDLER: 0
; COMPUTE_PGM_RSRC2:TGID_X_EN: 1
; COMPUTE_PGM_RSRC2:TGID_Y_EN: 0
; COMPUTE_PGM_RSRC2:TGID_Z_EN: 0
; COMPUTE_PGM_RSRC2:TIDIG_COMP_CNT: 0
	.section	.text._ZN2at6native12_GLOBAL__N_143distribution_elementwise_grid_stride_kernelIfLi4EZNS0_9templates4cuda20normal_and_transformIN3c108BFloat16EfPNS_17CUDAGeneratorImplEZZZNS4_17log_normal_kernelIS9_EEvRNS_18TensorIteratorBaseEddT_ENKUlvE_clEvENKUlvE2_clEvEUlfE_EEvSC_T1_T2_EUlP25hiprandStatePhilox4_32_10E_ZNS1_27distribution_nullary_kernelIS7_f15HIP_vector_typeIdLj2EES9_SL_SG_EEvSC_SI_RKT3_T4_EUlifE_EEvlNS_15PhiloxCudaStateESH_SI_,"axG",@progbits,_ZN2at6native12_GLOBAL__N_143distribution_elementwise_grid_stride_kernelIfLi4EZNS0_9templates4cuda20normal_and_transformIN3c108BFloat16EfPNS_17CUDAGeneratorImplEZZZNS4_17log_normal_kernelIS9_EEvRNS_18TensorIteratorBaseEddT_ENKUlvE_clEvENKUlvE2_clEvEUlfE_EEvSC_T1_T2_EUlP25hiprandStatePhilox4_32_10E_ZNS1_27distribution_nullary_kernelIS7_f15HIP_vector_typeIdLj2EES9_SL_SG_EEvSC_SI_RKT3_T4_EUlifE_EEvlNS_15PhiloxCudaStateESH_SI_,comdat
	.globl	_ZN2at6native12_GLOBAL__N_143distribution_elementwise_grid_stride_kernelIfLi4EZNS0_9templates4cuda20normal_and_transformIN3c108BFloat16EfPNS_17CUDAGeneratorImplEZZZNS4_17log_normal_kernelIS9_EEvRNS_18TensorIteratorBaseEddT_ENKUlvE_clEvENKUlvE2_clEvEUlfE_EEvSC_T1_T2_EUlP25hiprandStatePhilox4_32_10E_ZNS1_27distribution_nullary_kernelIS7_f15HIP_vector_typeIdLj2EES9_SL_SG_EEvSC_SI_RKT3_T4_EUlifE_EEvlNS_15PhiloxCudaStateESH_SI_ ; -- Begin function _ZN2at6native12_GLOBAL__N_143distribution_elementwise_grid_stride_kernelIfLi4EZNS0_9templates4cuda20normal_and_transformIN3c108BFloat16EfPNS_17CUDAGeneratorImplEZZZNS4_17log_normal_kernelIS9_EEvRNS_18TensorIteratorBaseEddT_ENKUlvE_clEvENKUlvE2_clEvEUlfE_EEvSC_T1_T2_EUlP25hiprandStatePhilox4_32_10E_ZNS1_27distribution_nullary_kernelIS7_f15HIP_vector_typeIdLj2EES9_SL_SG_EEvSC_SI_RKT3_T4_EUlifE_EEvlNS_15PhiloxCudaStateESH_SI_
	.p2align	8
	.type	_ZN2at6native12_GLOBAL__N_143distribution_elementwise_grid_stride_kernelIfLi4EZNS0_9templates4cuda20normal_and_transformIN3c108BFloat16EfPNS_17CUDAGeneratorImplEZZZNS4_17log_normal_kernelIS9_EEvRNS_18TensorIteratorBaseEddT_ENKUlvE_clEvENKUlvE2_clEvEUlfE_EEvSC_T1_T2_EUlP25hiprandStatePhilox4_32_10E_ZNS1_27distribution_nullary_kernelIS7_f15HIP_vector_typeIdLj2EES9_SL_SG_EEvSC_SI_RKT3_T4_EUlifE_EEvlNS_15PhiloxCudaStateESH_SI_,@function
_ZN2at6native12_GLOBAL__N_143distribution_elementwise_grid_stride_kernelIfLi4EZNS0_9templates4cuda20normal_and_transformIN3c108BFloat16EfPNS_17CUDAGeneratorImplEZZZNS4_17log_normal_kernelIS9_EEvRNS_18TensorIteratorBaseEddT_ENKUlvE_clEvENKUlvE2_clEvEUlfE_EEvSC_T1_T2_EUlP25hiprandStatePhilox4_32_10E_ZNS1_27distribution_nullary_kernelIS7_f15HIP_vector_typeIdLj2EES9_SL_SG_EEvSC_SI_RKT3_T4_EUlifE_EEvlNS_15PhiloxCudaStateESH_SI_: ; @_ZN2at6native12_GLOBAL__N_143distribution_elementwise_grid_stride_kernelIfLi4EZNS0_9templates4cuda20normal_and_transformIN3c108BFloat16EfPNS_17CUDAGeneratorImplEZZZNS4_17log_normal_kernelIS9_EEvRNS_18TensorIteratorBaseEddT_ENKUlvE_clEvENKUlvE2_clEvEUlfE_EEvSC_T1_T2_EUlP25hiprandStatePhilox4_32_10E_ZNS1_27distribution_nullary_kernelIS7_f15HIP_vector_typeIdLj2EES9_SL_SG_EEvSC_SI_RKT3_T4_EUlifE_EEvlNS_15PhiloxCudaStateESH_SI_
; %bb.0:
	s_clause 0x2
	s_load_b64 s[8:9], s[0:1], 0x10
	s_load_b128 s[4:7], s[0:1], 0x0
	s_load_b32 s2, s[0:1], 0x20
	s_waitcnt lgkmcnt(0)
	v_dual_mov_b32 v2, s8 :: v_dual_mov_b32 v3, s9
	v_dual_mov_b32 v11, s7 :: v_dual_mov_b32 v10, s6
	s_bitcmp0_b32 s2, 0
	s_mov_b32 s2, 0
	s_cbranch_scc1 .LBB12_2
; %bb.1:
	v_dual_mov_b32 v1, s8 :: v_dual_mov_b32 v2, s9
	v_dual_mov_b32 v4, s6 :: v_dual_mov_b32 v5, s7
	s_load_b64 s[6:7], s[0:1], 0x18
	flat_load_b64 v[2:3], v[1:2]
	flat_load_b64 v[10:11], v[4:5]
	s_waitcnt vmcnt(1) lgkmcnt(0)
	v_add_co_u32 v2, vcc_lo, v2, s6
	v_add_co_ci_u32_e32 v3, vcc_lo, s7, v3, vcc_lo
.LBB12_2:
	s_clause 0x1
	s_load_b32 s3, s[0:1], 0x54
	s_load_b32 s13, s[0:1], 0x48
	s_waitcnt lgkmcnt(0)
	s_and_b32 s12, s3, 0xffff
	s_add_u32 s6, s4, -1
	s_mul_i32 s33, s13, s12
	s_addc_u32 s3, s5, -1
	s_lshl_b32 s62, s33, 2
	s_cmp_lg_u64 s[2:3], 0
	s_cbranch_scc0 .LBB12_27
; %bb.3:
	v_cvt_f32_ubyte0_e32 v1, 0
	v_cvt_f32_u32_e32 v4, s62
	s_sub_u32 s8, 0, s62
	s_subb_u32 s9, 0, 0
	s_delay_alu instid0(VALU_DEP_1) | instskip(NEXT) | instid1(VALU_DEP_1)
	v_fmamk_f32 v1, v1, 0x4f800000, v4
	v_rcp_f32_e32 v1, v1
	s_waitcnt_depctr 0xfff
	v_mul_f32_e32 v1, 0x5f7ffffc, v1
	s_delay_alu instid0(VALU_DEP_1) | instskip(NEXT) | instid1(VALU_DEP_1)
	v_mul_f32_e32 v4, 0x2f800000, v1
	v_trunc_f32_e32 v4, v4
	s_delay_alu instid0(VALU_DEP_1) | instskip(SKIP_1) | instid1(VALU_DEP_2)
	v_fmamk_f32 v1, v4, 0xcf800000, v1
	v_cvt_u32_f32_e32 v4, v4
	v_cvt_u32_f32_e32 v1, v1
	s_delay_alu instid0(VALU_DEP_2) | instskip(NEXT) | instid1(VALU_DEP_2)
	v_readfirstlane_b32 s2, v4
	v_readfirstlane_b32 s7, v1
	s_delay_alu instid0(VALU_DEP_2) | instskip(NEXT) | instid1(VALU_DEP_1)
	s_mul_i32 s10, s8, s2
	s_mul_hi_u32 s14, s8, s7
	s_mul_i32 s11, s9, s7
	s_add_i32 s10, s14, s10
	s_mul_i32 s16, s8, s7
	s_add_i32 s10, s10, s11
	s_mul_hi_u32 s14, s7, s16
	s_mul_hi_u32 s17, s2, s16
	s_mul_i32 s11, s2, s16
	s_mul_hi_u32 s16, s7, s10
	s_mul_i32 s7, s7, s10
	s_mul_hi_u32 s18, s2, s10
	s_add_u32 s7, s14, s7
	s_addc_u32 s14, 0, s16
	s_add_u32 s7, s7, s11
	s_mul_i32 s10, s2, s10
	s_addc_u32 s7, s14, s17
	s_addc_u32 s11, s18, 0
	s_add_u32 s7, s7, s10
	s_addc_u32 s10, 0, s11
	v_add_co_u32 v1, s7, v1, s7
	s_delay_alu instid0(VALU_DEP_1) | instskip(SKIP_1) | instid1(VALU_DEP_1)
	s_cmp_lg_u32 s7, 0
	s_addc_u32 s2, s2, s10
	v_readfirstlane_b32 s7, v1
	s_mul_i32 s10, s8, s2
	s_delay_alu instid0(VALU_DEP_1)
	s_mul_hi_u32 s11, s8, s7
	s_mul_i32 s9, s9, s7
	s_add_i32 s10, s11, s10
	s_mul_i32 s8, s8, s7
	s_add_i32 s10, s10, s9
	s_mul_hi_u32 s11, s2, s8
	s_mul_i32 s14, s2, s8
	s_mul_hi_u32 s8, s7, s8
	s_mul_hi_u32 s16, s7, s10
	s_mul_i32 s7, s7, s10
	s_mul_hi_u32 s9, s2, s10
	s_add_u32 s7, s8, s7
	s_addc_u32 s8, 0, s16
	s_add_u32 s7, s7, s14
	s_mul_i32 s10, s2, s10
	s_addc_u32 s7, s8, s11
	s_addc_u32 s8, s9, 0
	s_add_u32 s7, s7, s10
	s_addc_u32 s8, 0, s8
	v_add_co_u32 v1, s7, v1, s7
	s_delay_alu instid0(VALU_DEP_1) | instskip(SKIP_2) | instid1(VALU_DEP_1)
	s_cmp_lg_u32 s7, 0
	s_addc_u32 s7, s2, s8
	s_ashr_i32 s8, s3, 31
	v_readfirstlane_b32 s10, v1
	s_add_u32 s2, s6, s8
	s_mov_b32 s9, s8
	s_addc_u32 s3, s3, s8
	s_delay_alu instid0(SALU_CYCLE_1) | instskip(NEXT) | instid1(SALU_CYCLE_1)
	s_xor_b64 s[2:3], s[2:3], s[8:9]
	s_mul_i32 s14, s2, s7
	s_mul_hi_u32 s16, s2, s10
	s_mul_hi_u32 s11, s2, s7
	;; [unrolled: 1-line block ×3, first 2 shown]
	s_mul_i32 s10, s3, s10
	s_add_u32 s14, s16, s14
	s_addc_u32 s11, 0, s11
	s_mul_hi_u32 s17, s3, s7
	s_add_u32 s10, s14, s10
	s_mul_i32 s7, s3, s7
	s_addc_u32 s10, s11, s18
	s_addc_u32 s11, s17, 0
	s_add_u32 s7, s10, s7
	s_addc_u32 s10, 0, s11
	s_mul_i32 s14, s62, s7
	s_add_u32 s11, s7, 1
	v_sub_co_u32 v1, s2, s2, s14
	s_mul_hi_u32 s14, s62, s7
	s_addc_u32 s16, s10, 0
	s_mul_i32 s17, s62, s10
	s_delay_alu instid0(VALU_DEP_1)
	v_sub_co_u32 v4, s18, v1, s62
	s_add_u32 s19, s7, 2
	s_addc_u32 s20, s10, 0
	s_add_i32 s14, s14, s17
	s_cmp_lg_u32 s2, 0
	v_readfirstlane_b32 s2, v4
	s_subb_u32 s3, s3, s14
	s_cmp_lg_u32 s18, 0
	s_subb_u32 s14, s3, 0
	s_delay_alu instid0(VALU_DEP_1) | instskip(SKIP_4) | instid1(SALU_CYCLE_1)
	s_cmp_ge_u32 s2, s62
	s_cselect_b32 s2, -1, 0
	s_cmp_eq_u32 s14, 0
	v_readfirstlane_b32 s14, v1
	s_cselect_b32 s2, s2, -1
	s_cmp_lg_u32 s2, 0
	s_cselect_b32 s2, s19, s11
	s_cselect_b32 s11, s20, s16
	s_cmp_ge_u32 s14, s62
	s_cselect_b32 s14, -1, 0
	s_cmp_eq_u32 s3, 0
	s_cselect_b32 s3, s14, -1
	s_delay_alu instid0(SALU_CYCLE_1) | instskip(SKIP_2) | instid1(SALU_CYCLE_1)
	s_cmp_lg_u32 s3, 0
	s_cselect_b32 s3, s11, s10
	s_cselect_b32 s2, s2, s7
	s_xor_b64 s[2:3], s[2:3], s[8:9]
	s_delay_alu instid0(SALU_CYCLE_1)
	s_sub_u32 s2, s2, s8
	s_subb_u32 s3, s3, s8
	s_cbranch_execnz .LBB12_5
.LBB12_4:
	v_cvt_f32_u32_e32 v1, s62
	s_sub_i32 s3, 0, s62
	s_delay_alu instid0(VALU_DEP_1) | instskip(SKIP_2) | instid1(VALU_DEP_1)
	v_rcp_iflag_f32_e32 v1, v1
	s_waitcnt_depctr 0xfff
	v_mul_f32_e32 v1, 0x4f7ffffe, v1
	v_cvt_u32_f32_e32 v1, v1
	s_delay_alu instid0(VALU_DEP_1) | instskip(NEXT) | instid1(VALU_DEP_1)
	v_readfirstlane_b32 s2, v1
	s_mul_i32 s3, s3, s2
	s_delay_alu instid0(SALU_CYCLE_1) | instskip(NEXT) | instid1(SALU_CYCLE_1)
	s_mul_hi_u32 s3, s2, s3
	s_add_i32 s2, s2, s3
	s_delay_alu instid0(SALU_CYCLE_1) | instskip(NEXT) | instid1(SALU_CYCLE_1)
	s_mul_hi_u32 s2, s6, s2
	s_mul_i32 s3, s2, s62
	s_delay_alu instid0(SALU_CYCLE_1)
	s_sub_i32 s3, s6, s3
	s_add_i32 s6, s2, 1
	s_sub_i32 s7, s3, s62
	s_cmp_ge_u32 s3, s62
	s_cselect_b32 s2, s6, s2
	s_cselect_b32 s3, s7, s3
	s_add_i32 s6, s2, 1
	s_cmp_ge_u32 s3, s62
	s_mov_b32 s3, 0
	s_cselect_b32 s2, s6, s2
.LBB12_5:
	v_mov_b32_e32 v1, 0
	s_add_u32 s2, s2, 1
	s_addc_u32 s3, s3, 0
	s_mul_hi_u32 s6, s33, s2
	s_mul_i32 s3, s33, s3
	v_mad_u64_u32 v[12:13], null, s12, s15, v[0:1]
	s_mul_hi_u32 s7, s13, s12
	s_add_i32 s3, s6, s3
	s_mul_i32 s7, s7, s2
	s_mul_i32 s2, s33, s2
	s_add_i32 s3, s3, s7
	s_mov_b32 s6, exec_lo
	s_lshl_b64 s[2:3], s[2:3], 2
	s_delay_alu instid0(SALU_CYCLE_1)
	v_cmpx_gt_i64_e64 s[2:3], v[12:13]
	s_cbranch_execz .LBB12_26
; %bb.6:
	v_alignbit_b32 v19, v3, v2, 2
	v_mad_u64_u32 v[6:7], null, 0xcd9e8d57, v12, 0
	v_lshrrev_b32_e32 v20, 2, v3
	s_waitcnt vmcnt(0)
	v_dual_mov_b32 v18, v11 :: v_dual_and_b32 v23, 3, v2
	v_mad_u64_u32 v[4:5], null, 0xd2511f53, v19, 0
	v_add_co_u32 v22, null, 0x9e3779b9, v10
	s_delay_alu instid0(VALU_DEP_3) | instskip(SKIP_1) | instid1(VALU_DEP_4)
	v_add_co_u32 v21, null, 0xbb67ae85, v18
	v_add_co_u32 v26, null, 0x3c6ef372, v10
	v_xor_b32_e32 v3, v5, v11
	v_xor3_b32 v5, v10, v7, v20
	v_add_co_u32 v27, null, 0x76cf5d0a, v18
	v_add_co_u32 v31, null, 0x32370b8f, v18
	s_delay_alu instid0(VALU_DEP_4) | instskip(NEXT) | instid1(VALU_DEP_4)
	v_xor_b32_e32 v3, v3, v13
	v_mad_u64_u32 v[7:8], null, 0xd2511f53, v5, 0
	v_add_co_u32 v30, null, 0xdaa66d2b, v10
	s_delay_alu instid0(VALU_DEP_3) | instskip(SKIP_1) | instid1(VALU_DEP_4)
	v_mad_u64_u32 v[14:15], null, 0xcd9e8d57, v3, 0
	v_add_co_u32 v32, null, 0x78dde6e4, v10
	v_xor3_b32 v4, v21, v8, v4
	v_add_co_u32 v35, null, 0xed9eba14, v18
	v_add_co_u32 v36, null, 0xa9066899, v18
	v_xor3_b32 v6, v22, v15, v6
	s_delay_alu instid0(VALU_DEP_4) | instskip(SKIP_1) | instid1(VALU_DEP_3)
	v_mad_u64_u32 v[2:3], null, 0xcd9e8d57, v4, 0
	v_add_co_u32 v29, null, 0x1715609d, v10
	v_mad_u64_u32 v[4:5], null, 0xd2511f53, v6, 0
	v_mov_b32_e32 v16, 0x3fb8aa3b
	s_clause 0x1
	s_load_b128 s[8:11], s[0:1], 0x38
	s_load_b64 s[6:7], s[0:1], 0x30
	s_delay_alu instid0(VALU_DEP_4) | instskip(SKIP_3) | instid1(VALU_DEP_3)
	v_xor3_b32 v3, v26, v3, v14
	s_mul_i32 s0, s13, 3
	v_mad_u64_u32 v[14:15], null, s15, s12, v[0:1]
	v_xor3_b32 v9, v27, v5, v7
	v_mad_u64_u32 v[5:6], null, 0xd2511f53, v3, 0
	v_rndne_f32_e32 v17, 0x7fc00000
	v_dual_fmaak_f32 v15, s0, v16, 0xffc00000 :: v_dual_mov_b32 v46, v13
	s_delay_alu instid0(VALU_DEP_4)
	v_mad_u64_u32 v[7:8], null, 0xcd9e8d57, v9, 0
	v_add_co_u32 v33, null, 0xb54cda56, v10
	v_xor3_b32 v4, v31, v6, v4
	v_sub_f32_e32 v16, 0x7fc00000, v17
	v_fmac_f32_e64 v15, 0x32a5705f, s0
	v_add_co_u32 v37, null, 0x646e171e, v18
	v_xor3_b32 v6, v30, v8, v2
	v_mad_u64_u32 v[2:3], null, 0xcd9e8d57, v4, 0
	v_add_co_u32 v38, null, 0x1fd5c5a3, v18
	s_delay_alu instid0(VALU_DEP_3) | instskip(SKIP_1) | instid1(VALU_DEP_4)
	v_mad_u64_u32 v[8:9], null, 0xd2511f53, v6, 0
	v_add_co_u32 v28, null, 0x5384540f, v10
	v_xor3_b32 v6, v32, v3, v7
	s_add_i32 s0, s15, s0
	s_add_i32 s14, s15, s13
	v_add_co_u32 v34, null, 0xf1bbcdc8, v10
	s_delay_alu instid0(VALU_DEP_4) | instskip(SKIP_3) | instid1(VALU_DEP_3)
	v_xor3_b32 v7, v35, v9, v5
	v_mad_u64_u32 v[3:4], null, 0xd2511f53, v6, 0
	s_lshl_b32 s1, s13, 1
	v_dual_mov_b32 v45, v12 :: v_dual_add_nc_u32 v24, 0x8ff34781, v10
	v_mad_u64_u32 v[5:6], null, 0xcd9e8d57, v7, 0
	s_add_i32 s15, s15, s1
	s_delay_alu instid0(VALU_DEP_3) | instskip(SKIP_4) | instid1(VALU_DEP_4)
	v_xor3_b32 v4, v36, v4, v8
	v_mad_u64_u32 v[42:43], null, s15, s12, v[0:1]
	s_waitcnt lgkmcnt(0)
	v_mul_lo_u32 v40, s8, v14
	s_mov_b32 s16, 0xbf559e2b
	v_xor3_b32 v2, v29, v6, v2
	v_mad_u64_u32 v[6:7], null, 0xcd9e8d57, v4, 0
	v_add_f32_e32 v4, v16, v15
	v_mad_u64_u32 v[15:16], null, s14, s12, v[0:1]
	s_delay_alu instid0(VALU_DEP_4) | instskip(NEXT) | instid1(VALU_DEP_3)
	v_mad_u64_u32 v[8:9], null, 0xd2511f53, v2, 0
	v_exp_f32_e32 v39, v4
	s_delay_alu instid0(VALU_DEP_4) | instskip(SKIP_2) | instid1(VALU_DEP_4)
	v_xor3_b32 v5, v33, v7, v5
	v_mul_lo_u32 v42, s8, v42
	s_mov_b32 s14, 0x6b47b09a
	v_mul_lo_u32 v44, s8, v15
	s_mov_b32 s18, 0xd7f4df2e
	s_delay_alu instid0(VALU_DEP_4) | instskip(SKIP_3) | instid1(VALU_DEP_2)
	v_xor3_b32 v7, v37, v9, v3
	v_mad_u64_u32 v[2:3], null, 0xd2511f53, v5, 0
	s_mov_b32 s20, 0x16291751
	s_mov_b32 s22, 0x9b27acf1
	v_mad_u64_u32 v[4:5], null, 0xcd9e8d57, v7, 0
	v_cvt_i32_f32_e32 v7, v17
	s_mov_b32 s24, 0x998ef7b6
	s_delay_alu instid0(VALU_DEP_3) | instskip(SKIP_1) | instid1(VALU_DEP_3)
	v_xor3_b32 v3, v38, v3, v8
	v_mad_u64_u32 v[8:9], null, s0, s12, v[0:1]
	v_ldexp_f32 v7, v39, v7
	v_xor3_b32 v9, v28, v5, v6
	s_delay_alu instid0(VALU_DEP_4) | instskip(SKIP_1) | instid1(VALU_DEP_3)
	v_mad_u64_u32 v[5:6], null, 0xcd9e8d57, v3, 0
	v_add_co_u32 v39, null, 0xdb3d7428, v18
	v_mad_u64_u32 v[16:17], null, 0xd2511f53, v9, 0
	v_bfe_u32 v3, v7, 16, 1
	v_mul_lo_u32 v41, s8, v8
	v_xor3_b32 v0, v34, v6, v4
	s_mul_i32 s0, s13, s8
	s_mov_b32 s26, 0xfefa39ef
	v_add_nc_u32_e32 v9, v7, v3
	v_xor3_b32 v4, v39, v17, v2
	v_mad_u64_u32 v[2:3], null, 0xd2511f53, v0, 0
	v_add_nc_u32_e32 v25, 0x96a522ad, v11
	s_delay_alu instid0(VALU_DEP_4) | instskip(NEXT) | instid1(VALU_DEP_4)
	v_add_nc_u32_e32 v0, 0x7fff, v9
	v_mad_u64_u32 v[6:7], null, 0xcd9e8d57, v4, 0
	s_mul_i32 s0, s0, s12
	s_mov_b32 s12, 0x55555555
	s_delay_alu instid0(VALU_DEP_4) | instskip(SKIP_3) | instid1(VALU_DEP_3)
	v_mov_b32_e32 v8, v2
	v_lshrrev_b32_e32 v43, 16, v0
	s_mov_b32 s28, 0x3b39803f
	s_mov_b32 s30, 0x6fdffd2b
	v_xor3_b32 v5, v7, v5, v24
	v_xor3_b32 v7, v3, v16, v25
	s_mov_b32 s34, 0xf99eb0bb
	s_mov_b32 s36, 0xd5f14825
	;; [unrolled: 1-line block ×14, first 2 shown]
	s_lshl_b32 s63, s33, 1
	s_mul_i32 s64, s33, 3
	s_mov_b32 s13, 0x3fe55555
	s_mov_b32 s15, 0x3fc38538
	s_mov_b32 s17, 0x3fc3ab76
	s_mov_b32 s19, 0x3fc7474d
	s_mov_b32 s21, 0x3fcc71c0
	s_mov_b32 s23, 0x3fd24924
	s_mov_b32 s25, 0x3fd99999
	s_mov_b32 s27, 0x3fe62e42
	s_mov_b32 s29, 0x3c7abc9e
	s_mov_b32 s31, 0xbf7e2fe7
	s_mov_b32 s35, 0x3f3e357e
	s_mov_b32 s37, 0x3fb50782
	s_mov_b32 s39, 0xbfe32d2c
	s_mov_b32 s41, 0x400466bc
	s_mov_b32 s43, 0xc014abbc
	s_mov_b32 s45, 0x400921fb
	s_mov_b32 s47, 0x3f5f9c89
	s_mov_b32 s49, 0xbf1b1673
	s_mov_b32 s51, 0xbf9a6d1e
	s_mov_b32 s53, 0x3fce1f50
	s_mov_b32 s55, 0xbff55d3c
	s_mov_b32 s57, 0x40103c1f
	s_mov_b32 s59, 0xc013bd3c
	s_lshl_b32 s8, s0, 2
	s_mov_b32 s60, 0x55555780
	s_mov_b32 s65, 0
	s_branch .LBB12_8
.LBB12_7:                               ;   in Loop: Header=BB12_8 Depth=1
	s_or_b32 exec_lo, exec_lo, s0
	v_add_co_u32 v12, vcc_lo, v12, s62
	v_add_co_ci_u32_e32 v13, vcc_lo, 0, v13, vcc_lo
	v_mov_b32_e32 v5, v14
	s_add_i32 s65, s65, s8
	s_waitcnt_vscnt null, 0x0
	s_delay_alu instid0(VALU_DEP_2)
	v_cmp_le_i64_e32 vcc_lo, s[2:3], v[12:13]
	s_barrier
	v_mov_b32_e32 v8, v5
	v_dual_mov_b32 v7, v4 :: v_dual_mov_b32 v6, v3
	v_mov_b32_e32 v5, v2
	s_or_b32 s11, vcc_lo, s11
	buffer_gl0_inv
	s_and_not1_b32 exec_lo, exec_lo, s11
	s_cbranch_execz .LBB12_26
.LBB12_8:                               ; =>This Inner Loop Header: Depth=1
	v_add_co_u32 v19, vcc_lo, v19, 1
	s_delay_alu instid0(VALU_DEP_1) | instskip(SKIP_1) | instid1(VALU_DEP_3)
	v_cndmask_b32_e64 v0, 0, 1, vcc_lo
	v_add_co_ci_u32_e32 v20, vcc_lo, 0, v20, vcc_lo
	v_mad_u64_u32 v[2:3], null, 0xd2511f53, v19, 0
	s_mov_b32 s0, exec_lo
	s_delay_alu instid0(VALU_DEP_2) | instskip(SKIP_1) | instid1(VALU_DEP_1)
	v_cmp_eq_u32_e32 vcc_lo, 0, v20
	v_cndmask_b32_e32 v0, 0, v0, vcc_lo
	v_add_nc_u32_e32 v45, v0, v45
	s_delay_alu instid0(VALU_DEP_1) | instskip(SKIP_2) | instid1(VALU_DEP_2)
	v_cmp_eq_u32_e32 vcc_lo, 0, v45
	v_cndmask_b32_e32 v0, 0, v0, vcc_lo
	v_mad_u64_u32 v[14:15], null, 0xcd9e8d57, v45, 0
	v_add_nc_u32_e32 v46, v0, v46
	v_xor_b32_e32 v0, v3, v11
	s_delay_alu instid0(VALU_DEP_3) | instskip(NEXT) | instid1(VALU_DEP_2)
	v_xor3_b32 v9, v15, v10, v20
	v_xor_b32_e32 v0, v46, v0
	s_delay_alu instid0(VALU_DEP_2) | instskip(NEXT) | instid1(VALU_DEP_2)
	v_mad_u64_u32 v[3:4], null, 0xd2511f53, v9, 0
	v_mad_u64_u32 v[15:16], null, 0xcd9e8d57, v0, 0
	s_delay_alu instid0(VALU_DEP_2) | instskip(NEXT) | instid1(VALU_DEP_2)
	v_xor3_b32 v0, v21, v4, v2
	v_xor3_b32 v2, v22, v16, v14
	s_delay_alu instid0(VALU_DEP_2) | instskip(NEXT) | instid1(VALU_DEP_2)
	v_mad_u64_u32 v[16:17], null, 0xcd9e8d57, v0, 0
	v_mad_u64_u32 v[47:48], null, 0xd2511f53, v2, 0
	s_delay_alu instid0(VALU_DEP_2) | instskip(NEXT) | instid1(VALU_DEP_2)
	v_xor3_b32 v0, v26, v17, v15
	v_xor3_b32 v4, v27, v48, v3
	;; [unrolled: 6-line block ×9, first 2 shown]
	s_delay_alu instid0(VALU_DEP_2)
	v_mov_b32_e32 v4, v9
	v_cmpx_lt_i32_e32 1, v23
	s_xor_b32 s0, exec_lo, s0
	s_cbranch_execz .LBB12_14
; %bb.9:                                ;   in Loop: Header=BB12_8 Depth=1
	s_mov_b32 s1, exec_lo
	v_cmpx_lt_i32_e32 2, v23
	s_xor_b32 s1, exec_lo, s1
; %bb.10:                               ;   in Loop: Header=BB12_8 Depth=1
	v_dual_mov_b32 v6, v8 :: v_dual_mov_b32 v7, v2
	v_mov_b32_e32 v8, v3
	s_delay_alu instid0(VALU_DEP_2) | instskip(NEXT) | instid1(VALU_DEP_3)
	v_mov_b32_e32 v5, v6
	v_mov_b32_e32 v6, v7
	s_delay_alu instid0(VALU_DEP_3)
	v_mov_b32_e32 v7, v8
	v_mov_b32_e32 v8, v9
; %bb.11:                               ;   in Loop: Header=BB12_8 Depth=1
	s_and_not1_saveexec_b32 s1, s1
; %bb.12:                               ;   in Loop: Header=BB12_8 Depth=1
	s_delay_alu instid0(VALU_DEP_1)
	v_dual_mov_b32 v5, v7 :: v_dual_mov_b32 v6, v8
	v_dual_mov_b32 v7, v2 :: v_dual_mov_b32 v8, v3
; %bb.13:                               ;   in Loop: Header=BB12_8 Depth=1
	s_or_b32 exec_lo, exec_lo, s1
.LBB12_14:                              ;   in Loop: Header=BB12_8 Depth=1
	s_and_not1_saveexec_b32 s0, s0
	s_cbranch_execz .LBB12_18
; %bb.15:                               ;   in Loop: Header=BB12_8 Depth=1
	s_mov_b32 s1, exec_lo
	v_cmpx_eq_u32_e32 1, v23
; %bb.16:                               ;   in Loop: Header=BB12_8 Depth=1
	v_dual_mov_b32 v5, v6 :: v_dual_mov_b32 v6, v7
	v_dual_mov_b32 v7, v8 :: v_dual_mov_b32 v8, v2
; %bb.17:                               ;   in Loop: Header=BB12_8 Depth=1
	s_or_b32 exec_lo, exec_lo, s1
.LBB12_18:                              ;   in Loop: Header=BB12_8 Depth=1
	s_delay_alu instid0(SALU_CYCLE_1) | instskip(NEXT) | instid1(VALU_DEP_2)
	s_or_b32 exec_lo, exec_lo, s0
	v_mov_b32_e32 v0, v6
	s_mov_b32 s61, s13
	s_delay_alu instid0(VALU_DEP_1) | instskip(NEXT) | instid1(VALU_DEP_1)
	v_lshlrev_b64 v[15:16], 21, v[0:1]
	v_cvt_f64_u32_e32 v[16:17], v16
	s_delay_alu instid0(VALU_DEP_2) | instskip(NEXT) | instid1(VALU_DEP_1)
	v_xor_b32_e32 v0, v15, v5
	v_cvt_f64_u32_e32 v[5:6], v0
	s_delay_alu instid0(VALU_DEP_3) | instskip(SKIP_1) | instid1(VALU_DEP_2)
	v_ldexp_f64 v[15:16], v[16:17], 32
	v_mov_b32_e32 v17, v1
	v_add_f64 v[5:6], v[15:16], v[5:6]
	s_delay_alu instid0(VALU_DEP_1) | instskip(NEXT) | instid1(VALU_DEP_1)
	v_fma_f64 v[15:16], 0x3ca00000, v[5:6], 0x3ca00000
	v_frexp_mant_f64_e32 v[5:6], v[15:16]
	v_frexp_exp_i32_f64_e32 v0, v[15:16]
	v_cmp_eq_f64_e64 s0, 0x7ff00000, v[15:16]
	s_delay_alu instid0(VALU_DEP_3) | instskip(SKIP_1) | instid1(VALU_DEP_4)
	v_cmp_gt_f64_e32 vcc_lo, s[12:13], v[5:6]
	v_cndmask_b32_e64 v18, 0x3ff00000, 2.0, vcc_lo
	v_subrev_co_ci_u32_e32 v0, vcc_lo, 0, v0, vcc_lo
	s_delay_alu instid0(VALU_DEP_2) | instskip(NEXT) | instid1(VALU_DEP_1)
	v_mul_f64 v[5:6], v[5:6], v[17:18]
	v_add_f64 v[17:18], v[5:6], 1.0
	v_add_f64 v[51:52], v[5:6], -1.0
	s_delay_alu instid0(VALU_DEP_2) | instskip(SKIP_1) | instid1(VALU_DEP_1)
	v_rcp_f64_e32 v[47:48], v[17:18]
	v_add_f64 v[53:54], v[17:18], -1.0
	v_add_f64 v[5:6], v[5:6], -v[53:54]
	s_waitcnt_depctr 0xfff
	v_fma_f64 v[49:50], -v[17:18], v[47:48], 1.0
	s_delay_alu instid0(VALU_DEP_1) | instskip(NEXT) | instid1(VALU_DEP_1)
	v_fma_f64 v[47:48], v[49:50], v[47:48], v[47:48]
	v_fma_f64 v[49:50], -v[17:18], v[47:48], 1.0
	s_delay_alu instid0(VALU_DEP_1) | instskip(NEXT) | instid1(VALU_DEP_1)
	v_fma_f64 v[47:48], v[49:50], v[47:48], v[47:48]
	v_mul_f64 v[49:50], v[51:52], v[47:48]
	s_delay_alu instid0(VALU_DEP_1) | instskip(NEXT) | instid1(VALU_DEP_1)
	v_mul_f64 v[55:56], v[17:18], v[49:50]
	v_fma_f64 v[17:18], v[49:50], v[17:18], -v[55:56]
	s_delay_alu instid0(VALU_DEP_1) | instskip(NEXT) | instid1(VALU_DEP_1)
	v_fma_f64 v[5:6], v[49:50], v[5:6], v[17:18]
	v_add_f64 v[17:18], v[55:56], v[5:6]
	s_delay_alu instid0(VALU_DEP_1) | instskip(SKIP_1) | instid1(VALU_DEP_2)
	v_add_f64 v[53:54], v[51:52], -v[17:18]
	v_add_f64 v[55:56], v[17:18], -v[55:56]
	;; [unrolled: 1-line block ×3, first 2 shown]
	s_delay_alu instid0(VALU_DEP_2) | instskip(NEXT) | instid1(VALU_DEP_2)
	v_add_f64 v[5:6], v[55:56], -v[5:6]
	v_add_f64 v[17:18], v[51:52], -v[17:18]
	s_delay_alu instid0(VALU_DEP_1) | instskip(NEXT) | instid1(VALU_DEP_1)
	v_add_f64 v[5:6], v[5:6], v[17:18]
	v_add_f64 v[5:6], v[53:54], v[5:6]
	s_delay_alu instid0(VALU_DEP_1) | instskip(NEXT) | instid1(VALU_DEP_1)
	v_mul_f64 v[5:6], v[47:48], v[5:6]
	v_add_f64 v[17:18], v[49:50], v[5:6]
	s_delay_alu instid0(VALU_DEP_1) | instskip(NEXT) | instid1(VALU_DEP_1)
	v_mul_f64 v[47:48], v[17:18], v[17:18]
	v_fma_f64 v[51:52], v[47:48], s[16:17], s[14:15]
	v_mul_f64 v[53:54], v[17:18], v[47:48]
	s_delay_alu instid0(VALU_DEP_2) | instskip(NEXT) | instid1(VALU_DEP_1)
	v_fma_f64 v[51:52], v[47:48], v[51:52], s[18:19]
	v_fma_f64 v[51:52], v[47:48], v[51:52], s[20:21]
	s_delay_alu instid0(VALU_DEP_1) | instskip(NEXT) | instid1(VALU_DEP_1)
	v_fma_f64 v[51:52], v[47:48], v[51:52], s[22:23]
	v_fma_f64 v[51:52], v[47:48], v[51:52], s[24:25]
	s_delay_alu instid0(VALU_DEP_1) | instskip(SKIP_3) | instid1(VALU_DEP_3)
	v_fma_f64 v[47:48], v[47:48], v[51:52], s[60:61]
	v_ldexp_f64 v[51:52], v[17:18], 1
	v_add_f64 v[17:18], v[17:18], -v[49:50]
	s_mov_b32 s61, exec_lo
	v_mul_f64 v[47:48], v[53:54], v[47:48]
	v_cvt_f64_i32_e32 v[53:54], v0
	s_delay_alu instid0(VALU_DEP_3) | instskip(SKIP_1) | instid1(VALU_DEP_1)
	v_add_f64 v[5:6], v[5:6], -v[17:18]
	v_mov_b32_e32 v0, v8
	v_lshlrev_b64 v[8:9], 21, v[0:1]
	s_delay_alu instid0(VALU_DEP_1) | instskip(NEXT) | instid1(VALU_DEP_1)
	v_xor_b32_e32 v0, v8, v7
	v_cvt_f64_u32_e32 v[7:8], v0
	v_add_f64 v[49:50], v[51:52], v[47:48]
	v_mul_f64 v[55:56], v[53:54], s[26:27]
	v_ldexp_f64 v[5:6], v[5:6], 1
	s_delay_alu instid0(VALU_DEP_3) | instskip(NEXT) | instid1(VALU_DEP_3)
	v_add_f64 v[17:18], v[49:50], -v[51:52]
	v_fma_f64 v[51:52], v[53:54], s[26:27], -v[55:56]
	s_delay_alu instid0(VALU_DEP_2) | instskip(NEXT) | instid1(VALU_DEP_2)
	v_add_f64 v[17:18], v[47:48], -v[17:18]
	v_fma_f64 v[47:48], v[53:54], s[28:29], v[51:52]
	s_delay_alu instid0(VALU_DEP_2) | instskip(NEXT) | instid1(VALU_DEP_2)
	v_add_f64 v[5:6], v[5:6], v[17:18]
	v_add_f64 v[17:18], v[55:56], v[47:48]
	s_delay_alu instid0(VALU_DEP_2) | instskip(NEXT) | instid1(VALU_DEP_2)
	v_add_f64 v[51:52], v[49:50], v[5:6]
	v_add_f64 v[55:56], v[17:18], -v[55:56]
	s_delay_alu instid0(VALU_DEP_2) | instskip(SKIP_1) | instid1(VALU_DEP_3)
	v_add_f64 v[53:54], v[17:18], v[51:52]
	v_add_f64 v[49:50], v[51:52], -v[49:50]
	v_add_f64 v[47:48], v[47:48], -v[55:56]
	s_delay_alu instid0(VALU_DEP_3) | instskip(NEXT) | instid1(VALU_DEP_3)
	v_add_f64 v[57:58], v[53:54], -v[17:18]
	v_add_f64 v[49:50], v[5:6], -v[49:50]
	s_delay_alu instid0(VALU_DEP_2) | instskip(SKIP_2) | instid1(VALU_DEP_4)
	v_add_f64 v[59:60], v[53:54], -v[57:58]
	v_add_f64 v[5:6], v[51:52], -v[57:58]
	v_cvt_f64_u32_e32 v[51:52], v9
	v_add_f64 v[55:56], v[47:48], v[49:50]
	s_delay_alu instid0(VALU_DEP_4) | instskip(NEXT) | instid1(VALU_DEP_1)
	v_add_f64 v[17:18], v[17:18], -v[59:60]
	v_add_f64 v[5:6], v[5:6], v[17:18]
	s_delay_alu instid0(VALU_DEP_4) | instskip(NEXT) | instid1(VALU_DEP_4)
	v_ldexp_f64 v[17:18], v[51:52], 32
	v_add_f64 v[51:52], v[55:56], -v[47:48]
	s_delay_alu instid0(VALU_DEP_3) | instskip(NEXT) | instid1(VALU_DEP_3)
	v_add_f64 v[57:58], v[55:56], v[5:6]
	v_add_f64 v[5:6], v[17:18], v[7:8]
	s_delay_alu instid0(VALU_DEP_3) | instskip(SKIP_1) | instid1(VALU_DEP_4)
	v_add_f64 v[7:8], v[55:56], -v[51:52]
	v_add_f64 v[49:50], v[49:50], -v[51:52]
	v_add_f64 v[17:18], v[53:54], v[57:58]
	s_delay_alu instid0(VALU_DEP_4) | instskip(NEXT) | instid1(VALU_DEP_4)
	v_fma_f64 v[5:6], 0x3cb00000, v[5:6], 0x3cb00000
	v_add_f64 v[7:8], v[47:48], -v[7:8]
	s_delay_alu instid0(VALU_DEP_3) | instskip(NEXT) | instid1(VALU_DEP_3)
	v_add_f64 v[47:48], v[17:18], -v[53:54]
	v_mul_f64 v[51:52], v[5:6], 0.5
	s_delay_alu instid0(VALU_DEP_3) | instskip(NEXT) | instid1(VALU_DEP_3)
	v_add_f64 v[7:8], v[49:50], v[7:8]
	v_add_f64 v[47:48], v[57:58], -v[47:48]
	s_delay_alu instid0(VALU_DEP_3) | instskip(SKIP_1) | instid1(VALU_DEP_3)
	v_fract_f64_e32 v[49:50], v[51:52]
	v_cmp_neq_f64_e32 vcc_lo, 0x7ff00000, v[51:52]
	v_add_f64 v[7:8], v[7:8], v[47:48]
	s_delay_alu instid0(VALU_DEP_3) | instskip(NEXT) | instid1(VALU_DEP_2)
	v_add_f64 v[47:48], v[49:50], v[49:50]
	v_add_f64 v[7:8], v[17:18], v[7:8]
	s_delay_alu instid0(VALU_DEP_2) | instskip(SKIP_1) | instid1(VALU_DEP_3)
	v_dual_cndmask_b32 v9, 0, v48 :: v_dual_cndmask_b32 v0, 0, v47
	v_cmp_lt_f64_e32 vcc_lo, 1.0, v[5:6]
	v_cndmask_b32_e64 v8, v8, v16, s0
	s_delay_alu instid0(VALU_DEP_4) | instskip(SKIP_2) | instid1(VALU_DEP_3)
	v_cndmask_b32_e64 v7, v7, v15, s0
	v_cmp_neq_f64_e64 s0, 0, v[15:16]
	v_dual_cndmask_b32 v16, v6, v9 :: v_dual_cndmask_b32 v15, v5, v0
	v_mul_f64 v[7:8], v[7:8], -2.0
	s_delay_alu instid0(VALU_DEP_2) | instskip(NEXT) | instid1(VALU_DEP_2)
	v_add_f64 v[17:18], v[15:16], v[15:16]
	v_cndmask_b32_e64 v8, 0x7ff00000, v8, s0
	s_delay_alu instid0(VALU_DEP_3) | instskip(NEXT) | instid1(VALU_DEP_3)
	v_cndmask_b32_e64 v7, 0, v7, s0
	v_rndne_f64_e32 v[17:18], v[17:18]
	s_delay_alu instid0(VALU_DEP_2) | instskip(NEXT) | instid1(VALU_DEP_2)
	v_cmp_gt_f64_e32 vcc_lo, 0x10000000, v[7:8]
	v_fma_f64 v[15:16], v[17:18], -0.5, v[15:16]
	v_cvt_i32_f64_e32 v9, v[17:18]
	v_cndmask_b32_e64 v0, 0, 1, vcc_lo
	s_delay_alu instid0(VALU_DEP_1) | instskip(NEXT) | instid1(VALU_DEP_1)
	v_lshlrev_b32_e32 v0, 8, v0
	v_ldexp_f64 v[7:8], v[7:8], v0
	v_cndmask_b32_e64 v0, 0, 0xffffff80, vcc_lo
	v_cmp_lg_f64_e32 vcc_lo, 0x7ff00000, v[5:6]
	v_mul_f64 v[51:52], v[15:16], v[15:16]
	v_and_b32_e32 v5, 1, v9
	v_rsq_f64_e32 v[47:48], v[7:8]
	v_cmp_class_f64_e64 s0, v[7:8], 0x260
	s_delay_alu instid0(VALU_DEP_3)
	v_fma_f64 v[55:56], v[51:52], s[34:35], s[30:31]
	v_fma_f64 v[57:58], v[51:52], s[48:49], s[46:47]
	v_mul_f64 v[59:60], v[15:16], v[51:52]
	s_waitcnt_depctr 0xfff
	v_mul_f64 v[49:50], v[7:8], v[47:48]
	v_mul_f64 v[47:48], v[47:48], 0.5
	v_fma_f64 v[55:56], v[51:52], v[55:56], s[36:37]
	v_fma_f64 v[57:58], v[51:52], v[57:58], s[50:51]
	s_delay_alu instid0(VALU_DEP_3) | instskip(NEXT) | instid1(VALU_DEP_3)
	v_fma_f64 v[53:54], -v[47:48], v[49:50], 0.5
	v_fma_f64 v[55:56], v[51:52], v[55:56], s[38:39]
	s_delay_alu instid0(VALU_DEP_3) | instskip(NEXT) | instid1(VALU_DEP_3)
	v_fma_f64 v[57:58], v[51:52], v[57:58], s[52:53]
	v_fma_f64 v[49:50], v[49:50], v[53:54], v[49:50]
	;; [unrolled: 1-line block ×3, first 2 shown]
	s_delay_alu instid0(VALU_DEP_2) | instskip(NEXT) | instid1(VALU_DEP_1)
	v_fma_f64 v[53:54], -v[49:50], v[49:50], v[7:8]
	v_fma_f64 v[49:50], v[53:54], v[47:48], v[49:50]
	v_fma_f64 v[53:54], v[51:52], v[55:56], s[40:41]
	;; [unrolled: 1-line block ×3, first 2 shown]
	s_delay_alu instid0(VALU_DEP_3) | instskip(NEXT) | instid1(VALU_DEP_3)
	v_fma_f64 v[57:58], -v[49:50], v[49:50], v[7:8]
	v_fma_f64 v[53:54], v[51:52], v[53:54], s[42:43]
	s_delay_alu instid0(VALU_DEP_3) | instskip(NEXT) | instid1(VALU_DEP_3)
	v_fma_f64 v[55:56], v[51:52], v[55:56], s[56:57]
	v_fma_f64 v[47:48], v[57:58], v[47:48], v[49:50]
	s_delay_alu instid0(VALU_DEP_3) | instskip(NEXT) | instid1(VALU_DEP_3)
	v_mul_f64 v[49:50], v[59:60], v[53:54]
	v_fma_f64 v[53:54], v[51:52], v[55:56], s[58:59]
	s_delay_alu instid0(VALU_DEP_3) | instskip(NEXT) | instid1(VALU_DEP_3)
	v_ldexp_f64 v[47:48], v[47:48], v0
	v_fma_f64 v[15:16], v[15:16], s[44:45], v[49:50]
	s_delay_alu instid0(VALU_DEP_3) | instskip(SKIP_1) | instid1(VALU_DEP_4)
	v_fma_f64 v[17:18], v[51:52], v[53:54], 1.0
	v_lshlrev_b32_e32 v0, 30, v9
	v_cndmask_b32_e64 v8, v48, v8, s0
	v_cndmask_b32_e64 v7, v47, v7, s0
	v_cmp_eq_u32_e64 s0, 0, v5
	v_cmpx_gt_i64_e64 s[4:5], v[12:13]
	s_cbranch_execz .LBB12_20
; %bb.19:                               ;   in Loop: Header=BB12_8 Depth=1
	v_xor_b32_e32 v5, v0, v6
	s_delay_alu instid0(VALU_DEP_3) | instskip(SKIP_1) | instid1(VALU_DEP_3)
	v_cndmask_b32_e64 v6, v18, v16, s0
	v_cndmask_b32_e64 v9, v17, v15, s0
	v_and_b32_e32 v5, 0x80000000, v5
	s_delay_alu instid0(VALU_DEP_1) | instskip(NEXT) | instid1(VALU_DEP_3)
	v_xor_b32_e32 v6, v6, v5
	v_cndmask_b32_e32 v5, 0, v9, vcc_lo
	s_delay_alu instid0(VALU_DEP_2) | instskip(NEXT) | instid1(VALU_DEP_1)
	v_cndmask_b32_e32 v6, 0x7ff80000, v6, vcc_lo
	v_mul_f64 v[5:6], v[7:8], v[5:6]
	s_delay_alu instid0(VALU_DEP_1) | instskip(NEXT) | instid1(VALU_DEP_1)
	v_cvt_f32_f64_e32 v5, v[5:6]
	v_fma_f32 v5, s10, v5, s9
	s_delay_alu instid0(VALU_DEP_1) | instskip(SKIP_1) | instid1(VALU_DEP_2)
	v_mul_f32_e32 v6, 0x3fb8aa3b, v5
	v_cmp_ngt_f32_e64 s1, 0xc2ce8ed0, v5
	v_fma_f32 v9, 0x3fb8aa3b, v5, -v6
	v_rndne_f32_e32 v47, v6
	s_delay_alu instid0(VALU_DEP_1) | instskip(NEXT) | instid1(VALU_DEP_1)
	v_dual_fmac_f32 v9, 0x32a5705f, v5 :: v_dual_sub_f32 v6, v6, v47
	v_add_f32_e32 v6, v6, v9
	v_cvt_i32_f32_e32 v9, v47
	s_delay_alu instid0(VALU_DEP_2) | instskip(SKIP_2) | instid1(VALU_DEP_1)
	v_exp_f32_e32 v6, v6
	s_waitcnt_depctr 0xfff
	v_ldexp_f32 v6, v6, v9
	v_cndmask_b32_e64 v6, 0, v6, s1
	v_cmp_nlt_f32_e64 s1, 0x42b17218, v5
	s_delay_alu instid0(VALU_DEP_1) | instskip(SKIP_1) | instid1(VALU_DEP_2)
	v_cndmask_b32_e64 v9, 0x7f800000, v6, s1
	v_add_nc_u32_e32 v6, s65, v40
	v_bfe_u32 v5, v9, 16, 1
	s_delay_alu instid0(VALU_DEP_2) | instskip(NEXT) | instid1(VALU_DEP_2)
	v_ashrrev_i32_e32 v47, 31, v6
	v_add3_u32 v5, v9, v5, 0x7fff
	s_delay_alu instid0(VALU_DEP_1) | instskip(SKIP_1) | instid1(VALU_DEP_1)
	v_lshrrev_b32_e32 v48, 16, v5
	v_add_co_u32 v5, s1, s6, v6
	v_add_co_ci_u32_e64 v6, s1, s7, v47, s1
	v_cmp_o_f32_e64 s1, v9, v9
	s_delay_alu instid0(VALU_DEP_1)
	v_cndmask_b32_e64 v9, 0x7fc0, v48, s1
	global_store_b16 v[5:6], v9, off
.LBB12_20:                              ;   in Loop: Header=BB12_8 Depth=1
	s_or_b32 exec_lo, exec_lo, s61
	v_add_co_u32 v5, s1, s33, v12
	s_delay_alu instid0(VALU_DEP_1) | instskip(SKIP_1) | instid1(VALU_DEP_1)
	v_add_co_ci_u32_e64 v6, s1, 0, v13, s1
	s_mov_b32 s61, exec_lo
	v_cmpx_gt_i64_e64 s[4:5], v[5:6]
	s_cbranch_execz .LBB12_22
; %bb.21:                               ;   in Loop: Header=BB12_8 Depth=1
	v_xor_b32_e32 v5, 0x80000000, v16
	v_cndmask_b32_e64 v6, v15, v17, s0
	v_and_b32_e32 v0, 0x80000000, v0
	s_delay_alu instid0(VALU_DEP_3) | instskip(NEXT) | instid1(VALU_DEP_1)
	v_cndmask_b32_e64 v5, v5, v18, s0
	v_xor_b32_e32 v0, v5, v0
	s_delay_alu instid0(VALU_DEP_4) | instskip(NEXT) | instid1(VALU_DEP_2)
	v_cndmask_b32_e32 v5, 0, v6, vcc_lo
	v_cndmask_b32_e32 v6, 0x7ff80000, v0, vcc_lo
	s_delay_alu instid0(VALU_DEP_1) | instskip(NEXT) | instid1(VALU_DEP_1)
	v_mul_f64 v[5:6], v[7:8], v[5:6]
	v_cvt_f32_f64_e32 v0, v[5:6]
	s_delay_alu instid0(VALU_DEP_1) | instskip(NEXT) | instid1(VALU_DEP_1)
	v_fma_f32 v0, s10, v0, s9
	v_mul_f32_e32 v5, 0x3fb8aa3b, v0
	v_cmp_ngt_f32_e32 vcc_lo, 0xc2ce8ed0, v0
	s_delay_alu instid0(VALU_DEP_2) | instskip(SKIP_1) | instid1(VALU_DEP_1)
	v_fma_f32 v6, 0x3fb8aa3b, v0, -v5
	v_rndne_f32_e32 v7, v5
	v_dual_fmac_f32 v6, 0x32a5705f, v0 :: v_dual_sub_f32 v5, v5, v7
	s_delay_alu instid0(VALU_DEP_1) | instskip(SKIP_1) | instid1(VALU_DEP_2)
	v_add_f32_e32 v5, v5, v6
	v_cvt_i32_f32_e32 v6, v7
	v_exp_f32_e32 v5, v5
	s_waitcnt_depctr 0xfff
	v_ldexp_f32 v5, v5, v6
	s_delay_alu instid0(VALU_DEP_1) | instskip(SKIP_1) | instid1(VALU_DEP_2)
	v_dual_cndmask_b32 v5, 0, v5 :: v_dual_add_nc_u32 v6, s65, v44
	v_cmp_nlt_f32_e32 vcc_lo, 0x42b17218, v0
	v_ashrrev_i32_e32 v7, 31, v6
	s_delay_alu instid0(VALU_DEP_3) | instskip(NEXT) | instid1(VALU_DEP_1)
	v_cndmask_b32_e32 v0, 0x7f800000, v5, vcc_lo
	v_bfe_u32 v5, v0, 16, 1
	s_delay_alu instid0(VALU_DEP_1) | instskip(NEXT) | instid1(VALU_DEP_1)
	v_add3_u32 v5, v0, v5, 0x7fff
	v_lshrrev_b32_e32 v8, 16, v5
	v_add_co_u32 v5, vcc_lo, s6, v6
	v_add_co_ci_u32_e32 v6, vcc_lo, s7, v7, vcc_lo
	v_cmp_o_f32_e32 vcc_lo, v0, v0
	s_delay_alu instid0(VALU_DEP_4)
	v_cndmask_b32_e32 v0, 0x7fc0, v8, vcc_lo
	global_store_b16 v[5:6], v0, off
.LBB12_22:                              ;   in Loop: Header=BB12_8 Depth=1
	s_or_b32 exec_lo, exec_lo, s61
	v_add_co_u32 v5, vcc_lo, s63, v12
	v_add_co_ci_u32_e32 v6, vcc_lo, 0, v13, vcc_lo
	s_mov_b32 s0, exec_lo
	s_delay_alu instid0(VALU_DEP_1)
	v_cmpx_gt_i64_e64 s[4:5], v[5:6]
	s_cbranch_execz .LBB12_24
; %bb.23:                               ;   in Loop: Header=BB12_8 Depth=1
	v_add_nc_u32_e32 v0, s65, v42
	s_delay_alu instid0(VALU_DEP_1) | instskip(SKIP_1) | instid1(VALU_DEP_2)
	v_ashrrev_i32_e32 v6, 31, v0
	v_add_co_u32 v5, vcc_lo, s6, v0
	v_add_co_ci_u32_e32 v6, vcc_lo, s7, v6, vcc_lo
	global_store_b16 v[5:6], v43, off
.LBB12_24:                              ;   in Loop: Header=BB12_8 Depth=1
	s_or_b32 exec_lo, exec_lo, s0
	v_add_co_u32 v5, vcc_lo, s64, v12
	v_add_co_ci_u32_e32 v6, vcc_lo, 0, v13, vcc_lo
	s_mov_b32 s0, exec_lo
	s_delay_alu instid0(VALU_DEP_1)
	v_cmpx_gt_i64_e64 s[4:5], v[5:6]
	s_cbranch_execz .LBB12_7
; %bb.25:                               ;   in Loop: Header=BB12_8 Depth=1
	v_add_nc_u32_e32 v0, s65, v41
	s_delay_alu instid0(VALU_DEP_1) | instskip(SKIP_1) | instid1(VALU_DEP_2)
	v_ashrrev_i32_e32 v6, 31, v0
	v_add_co_u32 v5, vcc_lo, s6, v0
	v_add_co_ci_u32_e32 v6, vcc_lo, s7, v6, vcc_lo
	global_store_b16 v[5:6], v43, off
	s_branch .LBB12_7
.LBB12_26:
	s_endpgm
.LBB12_27:
                                        ; implicit-def: $sgpr2_sgpr3
	s_branch .LBB12_4
	.section	.rodata,"a",@progbits
	.p2align	6, 0x0
	.amdhsa_kernel _ZN2at6native12_GLOBAL__N_143distribution_elementwise_grid_stride_kernelIfLi4EZNS0_9templates4cuda20normal_and_transformIN3c108BFloat16EfPNS_17CUDAGeneratorImplEZZZNS4_17log_normal_kernelIS9_EEvRNS_18TensorIteratorBaseEddT_ENKUlvE_clEvENKUlvE2_clEvEUlfE_EEvSC_T1_T2_EUlP25hiprandStatePhilox4_32_10E_ZNS1_27distribution_nullary_kernelIS7_f15HIP_vector_typeIdLj2EES9_SL_SG_EEvSC_SI_RKT3_T4_EUlifE_EEvlNS_15PhiloxCudaStateESH_SI_
		.amdhsa_group_segment_fixed_size 0
		.amdhsa_private_segment_fixed_size 0
		.amdhsa_kernarg_size 328
		.amdhsa_user_sgpr_count 15
		.amdhsa_user_sgpr_dispatch_ptr 0
		.amdhsa_user_sgpr_queue_ptr 0
		.amdhsa_user_sgpr_kernarg_segment_ptr 1
		.amdhsa_user_sgpr_dispatch_id 0
		.amdhsa_user_sgpr_private_segment_size 0
		.amdhsa_wavefront_size32 1
		.amdhsa_uses_dynamic_stack 0
		.amdhsa_enable_private_segment 0
		.amdhsa_system_sgpr_workgroup_id_x 1
		.amdhsa_system_sgpr_workgroup_id_y 0
		.amdhsa_system_sgpr_workgroup_id_z 0
		.amdhsa_system_sgpr_workgroup_info 0
		.amdhsa_system_vgpr_workitem_id 0
		.amdhsa_next_free_vgpr 61
		.amdhsa_next_free_sgpr 66
		.amdhsa_reserve_vcc 1
		.amdhsa_float_round_mode_32 0
		.amdhsa_float_round_mode_16_64 0
		.amdhsa_float_denorm_mode_32 3
		.amdhsa_float_denorm_mode_16_64 3
		.amdhsa_dx10_clamp 1
		.amdhsa_ieee_mode 1
		.amdhsa_fp16_overflow 0
		.amdhsa_workgroup_processor_mode 1
		.amdhsa_memory_ordered 1
		.amdhsa_forward_progress 0
		.amdhsa_shared_vgpr_count 0
		.amdhsa_exception_fp_ieee_invalid_op 0
		.amdhsa_exception_fp_denorm_src 0
		.amdhsa_exception_fp_ieee_div_zero 0
		.amdhsa_exception_fp_ieee_overflow 0
		.amdhsa_exception_fp_ieee_underflow 0
		.amdhsa_exception_fp_ieee_inexact 0
		.amdhsa_exception_int_div_zero 0
	.end_amdhsa_kernel
	.section	.text._ZN2at6native12_GLOBAL__N_143distribution_elementwise_grid_stride_kernelIfLi4EZNS0_9templates4cuda20normal_and_transformIN3c108BFloat16EfPNS_17CUDAGeneratorImplEZZZNS4_17log_normal_kernelIS9_EEvRNS_18TensorIteratorBaseEddT_ENKUlvE_clEvENKUlvE2_clEvEUlfE_EEvSC_T1_T2_EUlP25hiprandStatePhilox4_32_10E_ZNS1_27distribution_nullary_kernelIS7_f15HIP_vector_typeIdLj2EES9_SL_SG_EEvSC_SI_RKT3_T4_EUlifE_EEvlNS_15PhiloxCudaStateESH_SI_,"axG",@progbits,_ZN2at6native12_GLOBAL__N_143distribution_elementwise_grid_stride_kernelIfLi4EZNS0_9templates4cuda20normal_and_transformIN3c108BFloat16EfPNS_17CUDAGeneratorImplEZZZNS4_17log_normal_kernelIS9_EEvRNS_18TensorIteratorBaseEddT_ENKUlvE_clEvENKUlvE2_clEvEUlfE_EEvSC_T1_T2_EUlP25hiprandStatePhilox4_32_10E_ZNS1_27distribution_nullary_kernelIS7_f15HIP_vector_typeIdLj2EES9_SL_SG_EEvSC_SI_RKT3_T4_EUlifE_EEvlNS_15PhiloxCudaStateESH_SI_,comdat
.Lfunc_end12:
	.size	_ZN2at6native12_GLOBAL__N_143distribution_elementwise_grid_stride_kernelIfLi4EZNS0_9templates4cuda20normal_and_transformIN3c108BFloat16EfPNS_17CUDAGeneratorImplEZZZNS4_17log_normal_kernelIS9_EEvRNS_18TensorIteratorBaseEddT_ENKUlvE_clEvENKUlvE2_clEvEUlfE_EEvSC_T1_T2_EUlP25hiprandStatePhilox4_32_10E_ZNS1_27distribution_nullary_kernelIS7_f15HIP_vector_typeIdLj2EES9_SL_SG_EEvSC_SI_RKT3_T4_EUlifE_EEvlNS_15PhiloxCudaStateESH_SI_, .Lfunc_end12-_ZN2at6native12_GLOBAL__N_143distribution_elementwise_grid_stride_kernelIfLi4EZNS0_9templates4cuda20normal_and_transformIN3c108BFloat16EfPNS_17CUDAGeneratorImplEZZZNS4_17log_normal_kernelIS9_EEvRNS_18TensorIteratorBaseEddT_ENKUlvE_clEvENKUlvE2_clEvEUlfE_EEvSC_T1_T2_EUlP25hiprandStatePhilox4_32_10E_ZNS1_27distribution_nullary_kernelIS7_f15HIP_vector_typeIdLj2EES9_SL_SG_EEvSC_SI_RKT3_T4_EUlifE_EEvlNS_15PhiloxCudaStateESH_SI_
                                        ; -- End function
	.section	.AMDGPU.csdata,"",@progbits
; Kernel info:
; codeLenInByte = 5060
; NumSgprs: 68
; NumVgprs: 61
; ScratchSize: 0
; MemoryBound: 0
; FloatMode: 240
; IeeeMode: 1
; LDSByteSize: 0 bytes/workgroup (compile time only)
; SGPRBlocks: 8
; VGPRBlocks: 7
; NumSGPRsForWavesPerEU: 68
; NumVGPRsForWavesPerEU: 61
; Occupancy: 16
; WaveLimiterHint : 0
; COMPUTE_PGM_RSRC2:SCRATCH_EN: 0
; COMPUTE_PGM_RSRC2:USER_SGPR: 15
; COMPUTE_PGM_RSRC2:TRAP_HANDLER: 0
; COMPUTE_PGM_RSRC2:TGID_X_EN: 1
; COMPUTE_PGM_RSRC2:TGID_Y_EN: 0
; COMPUTE_PGM_RSRC2:TGID_Z_EN: 0
; COMPUTE_PGM_RSRC2:TIDIG_COMP_CNT: 0
	.section	.text._ZN2at6native12_GLOBAL__N_143distribution_elementwise_grid_stride_kernelIfLi4EZNS0_9templates4cuda20normal_and_transformIN3c108BFloat16EfPNS_17CUDAGeneratorImplEZZZNS4_17log_normal_kernelIS9_EEvRNS_18TensorIteratorBaseEddT_ENKUlvE_clEvENKUlvE2_clEvEUlfE_EEvSC_T1_T2_EUlP25hiprandStatePhilox4_32_10E_ZNS1_27distribution_nullary_kernelIS7_f15HIP_vector_typeIdLj2EES9_SL_SG_EEvSC_SI_RKT3_T4_EUlifE0_EEvlNS_15PhiloxCudaStateESH_SI_,"axG",@progbits,_ZN2at6native12_GLOBAL__N_143distribution_elementwise_grid_stride_kernelIfLi4EZNS0_9templates4cuda20normal_and_transformIN3c108BFloat16EfPNS_17CUDAGeneratorImplEZZZNS4_17log_normal_kernelIS9_EEvRNS_18TensorIteratorBaseEddT_ENKUlvE_clEvENKUlvE2_clEvEUlfE_EEvSC_T1_T2_EUlP25hiprandStatePhilox4_32_10E_ZNS1_27distribution_nullary_kernelIS7_f15HIP_vector_typeIdLj2EES9_SL_SG_EEvSC_SI_RKT3_T4_EUlifE0_EEvlNS_15PhiloxCudaStateESH_SI_,comdat
	.globl	_ZN2at6native12_GLOBAL__N_143distribution_elementwise_grid_stride_kernelIfLi4EZNS0_9templates4cuda20normal_and_transformIN3c108BFloat16EfPNS_17CUDAGeneratorImplEZZZNS4_17log_normal_kernelIS9_EEvRNS_18TensorIteratorBaseEddT_ENKUlvE_clEvENKUlvE2_clEvEUlfE_EEvSC_T1_T2_EUlP25hiprandStatePhilox4_32_10E_ZNS1_27distribution_nullary_kernelIS7_f15HIP_vector_typeIdLj2EES9_SL_SG_EEvSC_SI_RKT3_T4_EUlifE0_EEvlNS_15PhiloxCudaStateESH_SI_ ; -- Begin function _ZN2at6native12_GLOBAL__N_143distribution_elementwise_grid_stride_kernelIfLi4EZNS0_9templates4cuda20normal_and_transformIN3c108BFloat16EfPNS_17CUDAGeneratorImplEZZZNS4_17log_normal_kernelIS9_EEvRNS_18TensorIteratorBaseEddT_ENKUlvE_clEvENKUlvE2_clEvEUlfE_EEvSC_T1_T2_EUlP25hiprandStatePhilox4_32_10E_ZNS1_27distribution_nullary_kernelIS7_f15HIP_vector_typeIdLj2EES9_SL_SG_EEvSC_SI_RKT3_T4_EUlifE0_EEvlNS_15PhiloxCudaStateESH_SI_
	.p2align	8
	.type	_ZN2at6native12_GLOBAL__N_143distribution_elementwise_grid_stride_kernelIfLi4EZNS0_9templates4cuda20normal_and_transformIN3c108BFloat16EfPNS_17CUDAGeneratorImplEZZZNS4_17log_normal_kernelIS9_EEvRNS_18TensorIteratorBaseEddT_ENKUlvE_clEvENKUlvE2_clEvEUlfE_EEvSC_T1_T2_EUlP25hiprandStatePhilox4_32_10E_ZNS1_27distribution_nullary_kernelIS7_f15HIP_vector_typeIdLj2EES9_SL_SG_EEvSC_SI_RKT3_T4_EUlifE0_EEvlNS_15PhiloxCudaStateESH_SI_,@function
_ZN2at6native12_GLOBAL__N_143distribution_elementwise_grid_stride_kernelIfLi4EZNS0_9templates4cuda20normal_and_transformIN3c108BFloat16EfPNS_17CUDAGeneratorImplEZZZNS4_17log_normal_kernelIS9_EEvRNS_18TensorIteratorBaseEddT_ENKUlvE_clEvENKUlvE2_clEvEUlfE_EEvSC_T1_T2_EUlP25hiprandStatePhilox4_32_10E_ZNS1_27distribution_nullary_kernelIS7_f15HIP_vector_typeIdLj2EES9_SL_SG_EEvSC_SI_RKT3_T4_EUlifE0_EEvlNS_15PhiloxCudaStateESH_SI_: ; @_ZN2at6native12_GLOBAL__N_143distribution_elementwise_grid_stride_kernelIfLi4EZNS0_9templates4cuda20normal_and_transformIN3c108BFloat16EfPNS_17CUDAGeneratorImplEZZZNS4_17log_normal_kernelIS9_EEvRNS_18TensorIteratorBaseEddT_ENKUlvE_clEvENKUlvE2_clEvEUlfE_EEvSC_T1_T2_EUlP25hiprandStatePhilox4_32_10E_ZNS1_27distribution_nullary_kernelIS7_f15HIP_vector_typeIdLj2EES9_SL_SG_EEvSC_SI_RKT3_T4_EUlifE0_EEvlNS_15PhiloxCudaStateESH_SI_
; %bb.0:
	s_clause 0x2
	s_load_b64 s[4:5], s[0:1], 0x10
	s_load_b128 s[16:19], s[0:1], 0x0
	s_load_b32 s2, s[0:1], 0x20
	s_waitcnt lgkmcnt(0)
	v_dual_mov_b32 v2, s4 :: v_dual_mov_b32 v3, s5
	v_dual_mov_b32 v10, s18 :: v_dual_mov_b32 v11, s19
	s_bitcmp0_b32 s2, 0
	s_mov_b32 s2, 0
	s_cbranch_scc1 .LBB13_2
; %bb.1:
	v_dual_mov_b32 v1, s4 :: v_dual_mov_b32 v2, s5
	v_dual_mov_b32 v4, s18 :: v_dual_mov_b32 v5, s19
	s_load_b64 s[4:5], s[0:1], 0x18
	flat_load_b64 v[2:3], v[1:2]
	flat_load_b64 v[10:11], v[4:5]
	s_waitcnt vmcnt(1) lgkmcnt(0)
	v_add_co_u32 v2, vcc_lo, v2, s4
	v_add_co_ci_u32_e32 v3, vcc_lo, s5, v3, vcc_lo
.LBB13_2:
	s_clause 0x1
	s_load_b32 s3, s[0:1], 0x154
	s_load_b32 s4, s[0:1], 0x148
	s_waitcnt lgkmcnt(0)
	s_and_b32 s5, s3, 0xffff
	s_add_u32 s6, s16, -1
	s_mul_i32 s33, s4, s5
	s_addc_u32 s3, s17, -1
	s_lshl_b32 s78, s33, 2
	s_cmp_lg_u64 s[2:3], 0
	s_cbranch_scc0 .LBB13_79
; %bb.3:
	v_cvt_f32_ubyte0_e32 v1, 0
	v_cvt_f32_u32_e32 v4, s78
	s_sub_u32 s8, 0, s78
	s_subb_u32 s9, 0, 0
	s_delay_alu instid0(VALU_DEP_1) | instskip(NEXT) | instid1(VALU_DEP_1)
	v_fmamk_f32 v1, v1, 0x4f800000, v4
	v_rcp_f32_e32 v1, v1
	s_waitcnt_depctr 0xfff
	v_mul_f32_e32 v1, 0x5f7ffffc, v1
	s_delay_alu instid0(VALU_DEP_1) | instskip(NEXT) | instid1(VALU_DEP_1)
	v_mul_f32_e32 v4, 0x2f800000, v1
	v_trunc_f32_e32 v4, v4
	s_delay_alu instid0(VALU_DEP_1) | instskip(SKIP_1) | instid1(VALU_DEP_2)
	v_fmamk_f32 v1, v4, 0xcf800000, v1
	v_cvt_u32_f32_e32 v4, v4
	v_cvt_u32_f32_e32 v1, v1
	s_delay_alu instid0(VALU_DEP_2) | instskip(NEXT) | instid1(VALU_DEP_2)
	v_readfirstlane_b32 s2, v4
	v_readfirstlane_b32 s7, v1
	s_delay_alu instid0(VALU_DEP_2) | instskip(NEXT) | instid1(VALU_DEP_1)
	s_mul_i32 s10, s8, s2
	s_mul_hi_u32 s12, s8, s7
	s_mul_i32 s11, s9, s7
	s_add_i32 s10, s12, s10
	s_mul_i32 s13, s8, s7
	s_add_i32 s10, s10, s11
	s_mul_hi_u32 s12, s7, s13
	s_mul_hi_u32 s14, s2, s13
	s_mul_i32 s11, s2, s13
	s_mul_hi_u32 s13, s7, s10
	s_mul_i32 s7, s7, s10
	s_mul_hi_u32 s18, s2, s10
	s_add_u32 s7, s12, s7
	s_addc_u32 s12, 0, s13
	s_add_u32 s7, s7, s11
	s_mul_i32 s10, s2, s10
	s_addc_u32 s7, s12, s14
	s_addc_u32 s11, s18, 0
	s_add_u32 s7, s7, s10
	s_addc_u32 s10, 0, s11
	v_add_co_u32 v1, s7, v1, s7
	s_delay_alu instid0(VALU_DEP_1) | instskip(SKIP_1) | instid1(VALU_DEP_1)
	s_cmp_lg_u32 s7, 0
	s_addc_u32 s2, s2, s10
	v_readfirstlane_b32 s7, v1
	s_mul_i32 s10, s8, s2
	s_delay_alu instid0(VALU_DEP_1)
	s_mul_hi_u32 s11, s8, s7
	s_mul_i32 s9, s9, s7
	s_add_i32 s10, s11, s10
	s_mul_i32 s8, s8, s7
	s_add_i32 s10, s10, s9
	s_mul_hi_u32 s11, s2, s8
	s_mul_i32 s12, s2, s8
	s_mul_hi_u32 s8, s7, s8
	s_mul_hi_u32 s13, s7, s10
	s_mul_i32 s7, s7, s10
	s_mul_hi_u32 s9, s2, s10
	s_add_u32 s7, s8, s7
	s_addc_u32 s8, 0, s13
	s_add_u32 s7, s7, s12
	s_mul_i32 s10, s2, s10
	s_addc_u32 s7, s8, s11
	s_addc_u32 s8, s9, 0
	s_add_u32 s7, s7, s10
	s_addc_u32 s8, 0, s8
	v_add_co_u32 v1, s7, v1, s7
	s_delay_alu instid0(VALU_DEP_1) | instskip(SKIP_2) | instid1(VALU_DEP_1)
	s_cmp_lg_u32 s7, 0
	s_addc_u32 s7, s2, s8
	s_ashr_i32 s8, s3, 31
	v_readfirstlane_b32 s10, v1
	s_add_u32 s2, s6, s8
	s_mov_b32 s9, s8
	s_addc_u32 s3, s3, s8
	s_delay_alu instid0(SALU_CYCLE_1) | instskip(NEXT) | instid1(SALU_CYCLE_1)
	s_xor_b64 s[2:3], s[2:3], s[8:9]
	s_mul_i32 s12, s2, s7
	s_mul_hi_u32 s13, s2, s10
	s_mul_hi_u32 s11, s2, s7
	;; [unrolled: 1-line block ×3, first 2 shown]
	s_mul_i32 s10, s3, s10
	s_add_u32 s12, s13, s12
	s_addc_u32 s11, 0, s11
	s_mul_hi_u32 s14, s3, s7
	s_add_u32 s10, s12, s10
	s_mul_i32 s7, s3, s7
	s_addc_u32 s10, s11, s18
	s_addc_u32 s11, s14, 0
	s_add_u32 s7, s10, s7
	s_addc_u32 s10, 0, s11
	s_mul_i32 s12, s78, s7
	s_add_u32 s11, s7, 1
	v_sub_co_u32 v1, s2, s2, s12
	s_mul_hi_u32 s12, s78, s7
	s_addc_u32 s13, s10, 0
	s_mul_i32 s14, s78, s10
	s_delay_alu instid0(VALU_DEP_1)
	v_sub_co_u32 v4, s18, v1, s78
	s_add_u32 s19, s7, 2
	s_addc_u32 s20, s10, 0
	s_add_i32 s12, s12, s14
	s_cmp_lg_u32 s2, 0
	v_readfirstlane_b32 s2, v4
	s_subb_u32 s3, s3, s12
	s_cmp_lg_u32 s18, 0
	s_subb_u32 s12, s3, 0
	s_delay_alu instid0(VALU_DEP_1) | instskip(SKIP_4) | instid1(SALU_CYCLE_1)
	s_cmp_ge_u32 s2, s78
	s_cselect_b32 s2, -1, 0
	s_cmp_eq_u32 s12, 0
	v_readfirstlane_b32 s12, v1
	s_cselect_b32 s2, s2, -1
	s_cmp_lg_u32 s2, 0
	s_cselect_b32 s2, s19, s11
	s_cselect_b32 s11, s20, s13
	s_cmp_ge_u32 s12, s78
	s_cselect_b32 s12, -1, 0
	s_cmp_eq_u32 s3, 0
	s_cselect_b32 s3, s12, -1
	s_delay_alu instid0(SALU_CYCLE_1) | instskip(SKIP_2) | instid1(SALU_CYCLE_1)
	s_cmp_lg_u32 s3, 0
	s_cselect_b32 s3, s11, s10
	s_cselect_b32 s2, s2, s7
	s_xor_b64 s[2:3], s[2:3], s[8:9]
	s_delay_alu instid0(SALU_CYCLE_1)
	s_sub_u32 s2, s2, s8
	s_subb_u32 s3, s3, s8
	s_cbranch_execnz .LBB13_5
.LBB13_4:
	v_cvt_f32_u32_e32 v1, s78
	s_sub_i32 s3, 0, s78
	s_delay_alu instid0(VALU_DEP_1) | instskip(SKIP_2) | instid1(VALU_DEP_1)
	v_rcp_iflag_f32_e32 v1, v1
	s_waitcnt_depctr 0xfff
	v_mul_f32_e32 v1, 0x4f7ffffe, v1
	v_cvt_u32_f32_e32 v1, v1
	s_delay_alu instid0(VALU_DEP_1) | instskip(NEXT) | instid1(VALU_DEP_1)
	v_readfirstlane_b32 s2, v1
	s_mul_i32 s3, s3, s2
	s_delay_alu instid0(SALU_CYCLE_1) | instskip(NEXT) | instid1(SALU_CYCLE_1)
	s_mul_hi_u32 s3, s2, s3
	s_add_i32 s2, s2, s3
	s_delay_alu instid0(SALU_CYCLE_1) | instskip(NEXT) | instid1(SALU_CYCLE_1)
	s_mul_hi_u32 s2, s6, s2
	s_mul_i32 s3, s2, s78
	s_delay_alu instid0(SALU_CYCLE_1)
	s_sub_i32 s3, s6, s3
	s_add_i32 s6, s2, 1
	s_sub_i32 s7, s3, s78
	s_cmp_ge_u32 s3, s78
	s_cselect_b32 s2, s6, s2
	s_cselect_b32 s3, s7, s3
	s_add_i32 s6, s2, 1
	s_cmp_ge_u32 s3, s78
	s_mov_b32 s3, 0
	s_cselect_b32 s2, s6, s2
.LBB13_5:
	v_mov_b32_e32 v1, 0
	s_add_u32 s2, s2, 1
	s_addc_u32 s3, s3, 0
	s_mul_hi_u32 s6, s33, s2
	s_mul_i32 s3, s33, s3
	v_mad_u64_u32 v[12:13], null, s5, s15, v[0:1]
	s_mul_hi_u32 s4, s4, s5
	s_add_i32 s3, s6, s3
	s_mul_i32 s4, s4, s2
	s_mul_i32 s2, s33, s2
	s_add_i32 s3, s3, s4
	s_delay_alu instid0(SALU_CYCLE_1)
	s_lshl_b64 s[18:19], s[2:3], 2
	s_mov_b32 s2, exec_lo
	v_cmpx_gt_i64_e64 s[18:19], v[12:13]
	s_cbranch_execz .LBB13_78
; %bb.6:
	v_alignbit_b32 v19, v3, v2, 2
	v_mad_u64_u32 v[6:7], null, 0xcd9e8d57, v12, 0
	v_lshrrev_b32_e32 v20, 2, v3
	s_waitcnt vmcnt(0)
	v_dual_mov_b32 v18, v11 :: v_dual_and_b32 v21, 3, v2
	v_mad_u64_u32 v[4:5], null, 0xd2511f53, v19, 0
	v_add_co_u32 v25, null, 0x9e3779b9, v10
	s_delay_alu instid0(VALU_DEP_3) | instskip(SKIP_1) | instid1(VALU_DEP_4)
	v_add_co_u32 v23, null, 0xbb67ae85, v18
	v_add_co_u32 v27, null, 0x3c6ef372, v10
	v_xor_b32_e32 v0, v5, v11
	v_xor3_b32 v5, v10, v7, v20
	v_add_co_u32 v28, null, 0x76cf5d0a, v18
	v_add_co_u32 v30, null, 0xdaa66d2b, v10
	s_delay_alu instid0(VALU_DEP_4) | instskip(NEXT) | instid1(VALU_DEP_4)
	v_xor_b32_e32 v0, v0, v13
	v_mad_u64_u32 v[2:3], null, 0xd2511f53, v5, 0
	v_add_co_u32 v31, null, 0x32370b8f, v18
	s_delay_alu instid0(VALU_DEP_3) | instskip(SKIP_1) | instid1(VALU_DEP_4)
	v_mad_u64_u32 v[7:8], null, 0xcd9e8d57, v0, 0
	v_add_co_u32 v32, null, 0x78dde6e4, v10
	v_xor3_b32 v0, v23, v3, v4
	v_add_co_u32 v35, null, 0xed9eba14, v18
	v_add_co_u32 v29, null, 0x1715609d, v10
	v_xor3_b32 v8, v25, v8, v6
	s_delay_alu instid0(VALU_DEP_4) | instskip(SKIP_2) | instid1(VALU_DEP_4)
	v_mad_u64_u32 v[3:4], null, 0xcd9e8d57, v0, 0
	v_rndne_f32_e32 v14, 0x7fc00000
	v_add_co_u32 v36, null, 0xa9066899, v18
	v_mad_u64_u32 v[5:6], null, 0xd2511f53, v8, 0
	v_add_co_u32 v33, null, 0xb54cda56, v10
	v_xor3_b32 v0, v27, v4, v7
	v_add_co_u32 v37, null, 0x646e171e, v18
	s_load_b256 s[4:11], s[0:1], 0x30
	s_delay_alu instid0(VALU_DEP_4) | instskip(NEXT) | instid1(VALU_DEP_3)
	v_xor3_b32 v2, v28, v6, v2
	v_mad_u64_u32 v[6:7], null, 0xd2511f53, v0, 0
	v_add_co_u32 v26, null, 0x5384540f, v10
	s_delay_alu instid0(VALU_DEP_3) | instskip(SKIP_1) | instid1(VALU_DEP_4)
	v_mad_u64_u32 v[8:9], null, 0xcd9e8d57, v2, 0
	v_add_co_u32 v38, null, 0x1fd5c5a3, v18
	v_xor3_b32 v0, v31, v7, v5
	v_add_co_u32 v34, null, 0xf1bbcdc8, v10
	v_add_co_u32 v39, null, 0xdb3d7428, v18
	v_xor3_b32 v7, v30, v9, v3
	s_delay_alu instid0(VALU_DEP_4) | instskip(SKIP_2) | instid1(VALU_DEP_3)
	v_mad_u64_u32 v[2:3], null, 0xcd9e8d57, v0, 0
	v_mov_b32_e32 v0, 0x3fb8aa3b
	s_add_u32 s20, s0, 48
	v_mad_u64_u32 v[4:5], null, 0xd2511f53, v7, 0
	s_clause 0x1
	s_load_b64 s[22:23], s[0:1], 0xf4
	s_load_b128 s[12:15], s[0:1], 0x138
	v_fmaak_f32 v0, s0, v0, 0xffc00000
	v_xor3_b32 v3, v32, v3, v8
	s_addc_u32 s21, s1, 0
	s_waitcnt lgkmcnt(0)
	s_add_i32 s2, s4, -1
	v_dual_mov_b32 v41, v12 :: v_dual_add_nc_u32 v22, 0x8ff34781, v10
	v_xor3_b32 v9, v35, v5, v6
	v_mad_u64_u32 v[5:6], null, 0xd2511f53, v3, 0
	v_sub_f32_e32 v3, 0x7fc00000, v14
	v_fmac_f32_e64 v0, 0x32a5705f, s0
	s_delay_alu instid0(VALU_DEP_4)
	v_mad_u64_u32 v[7:8], null, 0xcd9e8d57, v9, 0
	s_cmp_gt_u32 s2, 1
	v_add_nc_u32_e32 v24, 0x96a522ad, v11
	v_xor3_b32 v4, v36, v6, v4
	v_add_f32_e32 v0, v3, v0
	s_cselect_b32 s11, -1, 0
	s_cmp_lg_u32 s4, 0
	s_delay_alu instid0(VALU_DEP_4) | instskip(SKIP_3) | instid1(VALU_DEP_2)
	v_xor3_b32 v6, v29, v8, v2
	v_mad_u64_u32 v[2:3], null, 0xcd9e8d57, v4, 0
	v_exp_f32_e32 v0, v0
	s_cselect_b32 s80, -1, 0
	v_mad_u64_u32 v[8:9], null, 0xd2511f53, v6, 0
	s_add_u32 s24, s0, 0xf4
	s_addc_u32 s25, s1, 0
	s_delay_alu instid0(VALU_DEP_2) | instskip(SKIP_3) | instid1(VALU_DEP_3)
	v_xor3_b32 v6, v33, v3, v7
	s_min_u32 s0, s2, 15
	s_cmp_gt_u32 s4, 1
	v_mov_b32_e32 v42, v13
	v_xor3_b32 v7, v37, v9, v5
	v_mad_u64_u32 v[3:4], null, 0xd2511f53, v6, 0
	s_cselect_b32 s4, -1, 0
	s_add_i32 s0, s0, 1
	s_delay_alu instid0(VALU_DEP_2) | instskip(SKIP_2) | instid1(VALU_DEP_3)
	v_mad_u64_u32 v[5:6], null, 0xcd9e8d57, v7, 0
	v_cvt_i32_f32_e32 v7, v14
	s_lshl_b32 s81, s33, 1
	v_xor3_b32 v4, v38, v4, v8
	s_and_b32 s82, s0, 3
	s_cmp_lg_u32 s2, 2
	v_ldexp_f32 v0, v0, v7
	s_delay_alu instid0(VALU_DEP_4) | instskip(SKIP_3) | instid1(VALU_DEP_2)
	v_xor3_b32 v2, v26, v6, v2
	v_mad_u64_u32 v[14:15], null, 0xcd9e8d57, v4, 0
	s_cselect_b32 s83, -1, 0
	s_and_b32 s84, s0, 28
	v_mad_u64_u32 v[16:17], null, 0xd2511f53, v2, 0
	v_bfe_u32 v2, v0, 16, 1
	s_cmp_lg_u32 s82, 0
	s_delay_alu instid0(VALU_DEP_3) | instskip(SKIP_3) | instid1(VALU_DEP_4)
	v_xor3_b32 v4, v34, v15, v5
	s_mov_b32 s26, 0x55555555
	s_mov_b32 s28, 0x6b47b09a
	v_add_nc_u32_e32 v0, v0, v2
	v_xor3_b32 v5, v39, v17, v3
	v_mad_u64_u32 v[2:3], null, 0xd2511f53, v4, 0
	s_mov_b32 s30, 0xbf559e2b
	s_delay_alu instid0(VALU_DEP_3) | instskip(NEXT) | instid1(VALU_DEP_3)
	v_add_nc_u32_e32 v0, 0x7fff, v0
	v_mad_u64_u32 v[6:7], null, 0xcd9e8d57, v5, 0
	s_mov_b32 s34, 0xd7f4df2e
	s_mov_b32 s36, 0x16291751
	s_delay_alu instid0(VALU_DEP_3) | instskip(SKIP_3) | instid1(VALU_DEP_3)
	v_mov_b32_e32 v8, v2
	v_lshrrev_b32_e32 v40, 16, v0
	s_mov_b32 s38, 0x9b27acf1
	s_mov_b32 s40, 0x998ef7b6
	v_xor3_b32 v5, v7, v14, v22
	v_xor3_b32 v7, v3, v16, v24
	s_mov_b32 s42, 0xfefa39ef
	s_mov_b32 s44, 0x3b39803f
	;; [unrolled: 1-line block ×40, first 2 shown]
	s_mul_i32 s85, s33, 3
	s_cselect_b32 s86, -1, 0
	s_mov_b32 s74, 0x55555780
	s_branch .LBB13_9
.LBB13_7:                               ;   in Loop: Header=BB13_9 Depth=1
	global_store_b16 v0, v40, s[12:13]
.LBB13_8:                               ;   in Loop: Header=BB13_9 Depth=1
	s_or_b32 exec_lo, exec_lo, s75
	v_add_co_u32 v12, vcc_lo, v12, s78
	v_add_co_ci_u32_e32 v13, vcc_lo, 0, v13, vcc_lo
	v_mov_b32_e32 v5, v14
	s_waitcnt_vscnt null, 0x0
	s_barrier
	s_delay_alu instid0(VALU_DEP_2)
	v_cmp_le_i64_e32 vcc_lo, s[18:19], v[12:13]
	buffer_gl0_inv
	v_mov_b32_e32 v8, v5
	v_dual_mov_b32 v7, v4 :: v_dual_mov_b32 v6, v3
	v_mov_b32_e32 v5, v2
	s_or_b32 s79, vcc_lo, s79
	s_delay_alu instid0(SALU_CYCLE_1)
	s_and_not1_b32 exec_lo, exec_lo, s79
	s_cbranch_execz .LBB13_78
.LBB13_9:                               ; =>This Loop Header: Depth=1
                                        ;     Child Loop BB13_24 Depth 2
                                        ;     Child Loop BB13_29 Depth 2
	;; [unrolled: 1-line block ×8, first 2 shown]
	v_add_co_u32 v19, vcc_lo, v19, 1
	s_delay_alu instid0(VALU_DEP_1) | instskip(SKIP_1) | instid1(VALU_DEP_3)
	v_cndmask_b32_e64 v0, 0, 1, vcc_lo
	v_add_co_ci_u32_e32 v20, vcc_lo, 0, v20, vcc_lo
	v_mad_u64_u32 v[2:3], null, 0xd2511f53, v19, 0
	s_mov_b32 s0, exec_lo
	s_delay_alu instid0(VALU_DEP_2) | instskip(SKIP_1) | instid1(VALU_DEP_1)
	v_cmp_eq_u32_e32 vcc_lo, 0, v20
	v_cndmask_b32_e32 v0, 0, v0, vcc_lo
	v_add_nc_u32_e32 v41, v0, v41
	s_delay_alu instid0(VALU_DEP_1) | instskip(SKIP_2) | instid1(VALU_DEP_2)
	v_cmp_eq_u32_e32 vcc_lo, 0, v41
	v_cndmask_b32_e32 v0, 0, v0, vcc_lo
	v_mad_u64_u32 v[14:15], null, 0xcd9e8d57, v41, 0
	v_add_nc_u32_e32 v42, v0, v42
	v_xor_b32_e32 v0, v3, v11
	s_delay_alu instid0(VALU_DEP_3) | instskip(NEXT) | instid1(VALU_DEP_2)
	v_xor3_b32 v9, v15, v10, v20
	v_xor_b32_e32 v0, v42, v0
	s_delay_alu instid0(VALU_DEP_2) | instskip(NEXT) | instid1(VALU_DEP_2)
	v_mad_u64_u32 v[3:4], null, 0xd2511f53, v9, 0
	v_mad_u64_u32 v[15:16], null, 0xcd9e8d57, v0, 0
	s_delay_alu instid0(VALU_DEP_2) | instskip(NEXT) | instid1(VALU_DEP_2)
	v_xor3_b32 v0, v23, v4, v2
	v_xor3_b32 v2, v25, v16, v14
	s_delay_alu instid0(VALU_DEP_2) | instskip(NEXT) | instid1(VALU_DEP_2)
	v_mad_u64_u32 v[16:17], null, 0xcd9e8d57, v0, 0
	v_mad_u64_u32 v[43:44], null, 0xd2511f53, v2, 0
	s_delay_alu instid0(VALU_DEP_2) | instskip(NEXT) | instid1(VALU_DEP_2)
	v_xor3_b32 v0, v27, v17, v15
	v_xor3_b32 v4, v28, v44, v3
	;; [unrolled: 6-line block ×9, first 2 shown]
	s_delay_alu instid0(VALU_DEP_2)
	v_mov_b32_e32 v4, v9
	v_cmpx_lt_i32_e32 1, v21
	s_xor_b32 s0, exec_lo, s0
	s_cbranch_execz .LBB13_15
; %bb.10:                               ;   in Loop: Header=BB13_9 Depth=1
	s_mov_b32 s1, exec_lo
	v_cmpx_lt_i32_e32 2, v21
	s_xor_b32 s1, exec_lo, s1
; %bb.11:                               ;   in Loop: Header=BB13_9 Depth=1
	v_dual_mov_b32 v6, v8 :: v_dual_mov_b32 v7, v2
	v_mov_b32_e32 v8, v3
	s_delay_alu instid0(VALU_DEP_2) | instskip(NEXT) | instid1(VALU_DEP_3)
	v_mov_b32_e32 v5, v6
	v_mov_b32_e32 v6, v7
	s_delay_alu instid0(VALU_DEP_3)
	v_mov_b32_e32 v7, v8
	v_mov_b32_e32 v8, v9
; %bb.12:                               ;   in Loop: Header=BB13_9 Depth=1
	s_and_not1_saveexec_b32 s1, s1
; %bb.13:                               ;   in Loop: Header=BB13_9 Depth=1
	s_delay_alu instid0(VALU_DEP_1)
	v_dual_mov_b32 v5, v7 :: v_dual_mov_b32 v6, v8
	v_dual_mov_b32 v7, v2 :: v_dual_mov_b32 v8, v3
; %bb.14:                               ;   in Loop: Header=BB13_9 Depth=1
	s_or_b32 exec_lo, exec_lo, s1
.LBB13_15:                              ;   in Loop: Header=BB13_9 Depth=1
	s_and_not1_saveexec_b32 s0, s0
	s_cbranch_execz .LBB13_19
; %bb.16:                               ;   in Loop: Header=BB13_9 Depth=1
	s_mov_b32 s1, exec_lo
	v_cmpx_eq_u32_e32 1, v21
; %bb.17:                               ;   in Loop: Header=BB13_9 Depth=1
	v_dual_mov_b32 v5, v6 :: v_dual_mov_b32 v6, v7
	v_dual_mov_b32 v7, v8 :: v_dual_mov_b32 v8, v2
; %bb.18:                               ;   in Loop: Header=BB13_9 Depth=1
	s_or_b32 exec_lo, exec_lo, s1
.LBB13_19:                              ;   in Loop: Header=BB13_9 Depth=1
	s_delay_alu instid0(SALU_CYCLE_1) | instskip(NEXT) | instid1(VALU_DEP_2)
	s_or_b32 exec_lo, exec_lo, s0
	v_mov_b32_e32 v0, v6
	s_mov_b32 s75, s27
	s_delay_alu instid0(VALU_DEP_1) | instskip(NEXT) | instid1(VALU_DEP_1)
	v_lshlrev_b64 v[15:16], 21, v[0:1]
	v_cvt_f64_u32_e32 v[16:17], v16
	s_delay_alu instid0(VALU_DEP_2) | instskip(NEXT) | instid1(VALU_DEP_1)
	v_xor_b32_e32 v0, v15, v5
	v_cvt_f64_u32_e32 v[5:6], v0
	s_delay_alu instid0(VALU_DEP_3) | instskip(SKIP_1) | instid1(VALU_DEP_2)
	v_ldexp_f64 v[15:16], v[16:17], 32
	v_mov_b32_e32 v17, v1
	v_add_f64 v[5:6], v[15:16], v[5:6]
	s_delay_alu instid0(VALU_DEP_1) | instskip(NEXT) | instid1(VALU_DEP_1)
	v_fma_f64 v[5:6], 0x3ca00000, v[5:6], 0x3ca00000
	v_frexp_mant_f64_e32 v[15:16], v[5:6]
	v_frexp_exp_i32_f64_e32 v0, v[5:6]
	v_cmp_eq_f64_e64 s0, 0x7ff00000, v[5:6]
	s_delay_alu instid0(VALU_DEP_3) | instskip(SKIP_1) | instid1(VALU_DEP_4)
	v_cmp_gt_f64_e32 vcc_lo, s[26:27], v[15:16]
	v_cndmask_b32_e64 v18, 0x3ff00000, 2.0, vcc_lo
	v_subrev_co_ci_u32_e32 v0, vcc_lo, 0, v0, vcc_lo
	s_delay_alu instid0(VALU_DEP_2) | instskip(NEXT) | instid1(VALU_DEP_1)
	v_mul_f64 v[15:16], v[15:16], v[17:18]
	v_add_f64 v[17:18], v[15:16], 1.0
	v_add_f64 v[47:48], v[15:16], -1.0
	s_delay_alu instid0(VALU_DEP_2) | instskip(SKIP_1) | instid1(VALU_DEP_1)
	v_rcp_f64_e32 v[43:44], v[17:18]
	v_add_f64 v[49:50], v[17:18], -1.0
	v_add_f64 v[15:16], v[15:16], -v[49:50]
	s_waitcnt_depctr 0xfff
	v_fma_f64 v[45:46], -v[17:18], v[43:44], 1.0
	s_delay_alu instid0(VALU_DEP_1) | instskip(NEXT) | instid1(VALU_DEP_1)
	v_fma_f64 v[43:44], v[45:46], v[43:44], v[43:44]
	v_fma_f64 v[45:46], -v[17:18], v[43:44], 1.0
	s_delay_alu instid0(VALU_DEP_1) | instskip(NEXT) | instid1(VALU_DEP_1)
	v_fma_f64 v[43:44], v[45:46], v[43:44], v[43:44]
	v_mul_f64 v[45:46], v[47:48], v[43:44]
	s_delay_alu instid0(VALU_DEP_1) | instskip(NEXT) | instid1(VALU_DEP_1)
	v_mul_f64 v[51:52], v[17:18], v[45:46]
	v_fma_f64 v[17:18], v[45:46], v[17:18], -v[51:52]
	s_delay_alu instid0(VALU_DEP_1) | instskip(NEXT) | instid1(VALU_DEP_1)
	v_fma_f64 v[15:16], v[45:46], v[15:16], v[17:18]
	v_add_f64 v[17:18], v[51:52], v[15:16]
	s_delay_alu instid0(VALU_DEP_1) | instskip(SKIP_1) | instid1(VALU_DEP_2)
	v_add_f64 v[49:50], v[47:48], -v[17:18]
	v_add_f64 v[51:52], v[17:18], -v[51:52]
	;; [unrolled: 1-line block ×3, first 2 shown]
	s_delay_alu instid0(VALU_DEP_2) | instskip(NEXT) | instid1(VALU_DEP_2)
	v_add_f64 v[15:16], v[51:52], -v[15:16]
	v_add_f64 v[17:18], v[47:48], -v[17:18]
	s_delay_alu instid0(VALU_DEP_1) | instskip(NEXT) | instid1(VALU_DEP_1)
	v_add_f64 v[15:16], v[15:16], v[17:18]
	v_add_f64 v[15:16], v[49:50], v[15:16]
	s_delay_alu instid0(VALU_DEP_1) | instskip(NEXT) | instid1(VALU_DEP_1)
	v_mul_f64 v[15:16], v[43:44], v[15:16]
	v_add_f64 v[17:18], v[45:46], v[15:16]
	s_delay_alu instid0(VALU_DEP_1) | instskip(NEXT) | instid1(VALU_DEP_1)
	v_mul_f64 v[43:44], v[17:18], v[17:18]
	v_fma_f64 v[47:48], v[43:44], s[30:31], s[28:29]
	v_mul_f64 v[49:50], v[17:18], v[43:44]
	s_delay_alu instid0(VALU_DEP_2) | instskip(NEXT) | instid1(VALU_DEP_1)
	v_fma_f64 v[47:48], v[43:44], v[47:48], s[34:35]
	v_fma_f64 v[47:48], v[43:44], v[47:48], s[36:37]
	s_delay_alu instid0(VALU_DEP_1) | instskip(NEXT) | instid1(VALU_DEP_1)
	v_fma_f64 v[47:48], v[43:44], v[47:48], s[38:39]
	v_fma_f64 v[47:48], v[43:44], v[47:48], s[40:41]
	s_delay_alu instid0(VALU_DEP_1) | instskip(SKIP_3) | instid1(VALU_DEP_3)
	v_fma_f64 v[43:44], v[43:44], v[47:48], s[74:75]
	v_ldexp_f64 v[47:48], v[17:18], 1
	v_add_f64 v[17:18], v[17:18], -v[45:46]
	s_mov_b32 s75, exec_lo
	v_mul_f64 v[43:44], v[49:50], v[43:44]
	v_cvt_f64_i32_e32 v[49:50], v0
	s_delay_alu instid0(VALU_DEP_3) | instskip(SKIP_1) | instid1(VALU_DEP_1)
	v_add_f64 v[15:16], v[15:16], -v[17:18]
	v_mov_b32_e32 v0, v8
	v_lshlrev_b64 v[8:9], 21, v[0:1]
	s_delay_alu instid0(VALU_DEP_1) | instskip(NEXT) | instid1(VALU_DEP_1)
	v_xor_b32_e32 v0, v8, v7
	v_cvt_f64_u32_e32 v[7:8], v0
	v_add_f64 v[45:46], v[47:48], v[43:44]
	v_mul_f64 v[51:52], v[49:50], s[42:43]
	v_ldexp_f64 v[15:16], v[15:16], 1
	s_delay_alu instid0(VALU_DEP_3) | instskip(NEXT) | instid1(VALU_DEP_3)
	v_add_f64 v[17:18], v[45:46], -v[47:48]
	v_fma_f64 v[47:48], v[49:50], s[42:43], -v[51:52]
	s_delay_alu instid0(VALU_DEP_2) | instskip(NEXT) | instid1(VALU_DEP_2)
	v_add_f64 v[17:18], v[43:44], -v[17:18]
	v_fma_f64 v[43:44], v[49:50], s[44:45], v[47:48]
	s_delay_alu instid0(VALU_DEP_2) | instskip(NEXT) | instid1(VALU_DEP_2)
	v_add_f64 v[15:16], v[15:16], v[17:18]
	v_add_f64 v[17:18], v[51:52], v[43:44]
	s_delay_alu instid0(VALU_DEP_2) | instskip(NEXT) | instid1(VALU_DEP_2)
	v_add_f64 v[47:48], v[45:46], v[15:16]
	v_add_f64 v[51:52], v[17:18], -v[51:52]
	s_delay_alu instid0(VALU_DEP_2) | instskip(SKIP_1) | instid1(VALU_DEP_3)
	v_add_f64 v[49:50], v[17:18], v[47:48]
	v_add_f64 v[45:46], v[47:48], -v[45:46]
	v_add_f64 v[43:44], v[43:44], -v[51:52]
	s_delay_alu instid0(VALU_DEP_3) | instskip(NEXT) | instid1(VALU_DEP_3)
	v_add_f64 v[53:54], v[49:50], -v[17:18]
	v_add_f64 v[15:16], v[15:16], -v[45:46]
	s_delay_alu instid0(VALU_DEP_2) | instskip(SKIP_2) | instid1(VALU_DEP_4)
	v_add_f64 v[55:56], v[49:50], -v[53:54]
	v_add_f64 v[45:46], v[47:48], -v[53:54]
	v_cvt_f64_u32_e32 v[47:48], v9
	v_add_f64 v[51:52], v[43:44], v[15:16]
	s_delay_alu instid0(VALU_DEP_4) | instskip(NEXT) | instid1(VALU_DEP_1)
	v_add_f64 v[17:18], v[17:18], -v[55:56]
	v_add_f64 v[17:18], v[45:46], v[17:18]
	s_delay_alu instid0(VALU_DEP_4) | instskip(NEXT) | instid1(VALU_DEP_4)
	v_ldexp_f64 v[45:46], v[47:48], 32
	v_add_f64 v[47:48], v[51:52], -v[43:44]
	s_delay_alu instid0(VALU_DEP_3) | instskip(NEXT) | instid1(VALU_DEP_3)
	v_add_f64 v[17:18], v[51:52], v[17:18]
	v_add_f64 v[7:8], v[45:46], v[7:8]
	s_delay_alu instid0(VALU_DEP_3) | instskip(SKIP_1) | instid1(VALU_DEP_4)
	v_add_f64 v[45:46], v[51:52], -v[47:48]
	v_add_f64 v[15:16], v[15:16], -v[47:48]
	v_add_f64 v[51:52], v[49:50], v[17:18]
	s_delay_alu instid0(VALU_DEP_4) | instskip(NEXT) | instid1(VALU_DEP_4)
	v_fma_f64 v[8:9], 0x3cb00000, v[7:8], 0x3cb00000
	v_add_f64 v[43:44], v[43:44], -v[45:46]
	s_delay_alu instid0(VALU_DEP_3) | instskip(NEXT) | instid1(VALU_DEP_3)
	v_add_f64 v[45:46], v[51:52], -v[49:50]
	v_mul_f64 v[47:48], v[8:9], 0.5
	s_delay_alu instid0(VALU_DEP_3) | instskip(NEXT) | instid1(VALU_DEP_3)
	v_add_f64 v[15:16], v[15:16], v[43:44]
	v_add_f64 v[17:18], v[17:18], -v[45:46]
	s_delay_alu instid0(VALU_DEP_3) | instskip(SKIP_1) | instid1(VALU_DEP_3)
	v_fract_f64_e32 v[43:44], v[47:48]
	v_cmp_neq_f64_e32 vcc_lo, 0x7ff00000, v[47:48]
	v_add_f64 v[15:16], v[15:16], v[17:18]
	s_delay_alu instid0(VALU_DEP_3) | instskip(NEXT) | instid1(VALU_DEP_2)
	v_add_f64 v[17:18], v[43:44], v[43:44]
	v_add_f64 v[15:16], v[51:52], v[15:16]
	s_delay_alu instid0(VALU_DEP_2) | instskip(SKIP_1) | instid1(VALU_DEP_3)
	v_dual_cndmask_b32 v7, 0, v18 :: v_dual_cndmask_b32 v0, 0, v17
	v_cmp_lt_f64_e32 vcc_lo, 1.0, v[8:9]
	v_cndmask_b32_e64 v16, v16, v6, s0
	s_delay_alu instid0(VALU_DEP_4) | instskip(SKIP_2) | instid1(VALU_DEP_3)
	v_cndmask_b32_e64 v15, v15, v5, s0
	v_cmp_neq_f64_e64 s0, 0, v[5:6]
	v_dual_cndmask_b32 v6, v9, v7 :: v_dual_cndmask_b32 v5, v8, v0
	v_mul_f64 v[15:16], v[15:16], -2.0
	s_delay_alu instid0(VALU_DEP_2) | instskip(NEXT) | instid1(VALU_DEP_2)
	v_add_f64 v[17:18], v[5:6], v[5:6]
	v_cndmask_b32_e64 v16, 0x7ff00000, v16, s0
	s_delay_alu instid0(VALU_DEP_3) | instskip(SKIP_1) | instid1(VALU_DEP_2)
	v_cndmask_b32_e64 v15, 0, v15, s0
	v_cmp_lg_f64_e64 s0, 0x7ff00000, v[8:9]
	v_cmp_gt_f64_e32 vcc_lo, 0x10000000, v[15:16]
	v_cndmask_b32_e64 v0, 0, 1, vcc_lo
	v_cndmask_b32_e64 v7, 0, 0xffffff80, vcc_lo
	s_delay_alu instid0(VALU_DEP_2) | instskip(NEXT) | instid1(VALU_DEP_1)
	v_lshlrev_b32_e32 v0, 8, v0
	v_ldexp_f64 v[44:45], v[15:16], v0
	v_rndne_f64_e32 v[15:16], v[17:18]
	s_delay_alu instid0(VALU_DEP_2) | instskip(NEXT) | instid1(VALU_DEP_1)
	v_rsq_f64_e32 v[17:18], v[44:45]
	v_fma_f64 v[5:6], v[15:16], -0.5, v[5:6]
	v_cvt_i32_f64_e32 v0, v[15:16]
	v_cmp_class_f64_e64 vcc_lo, v[44:45], 0x260
	s_delay_alu instid0(VALU_DEP_3)
	v_mul_f64 v[48:49], v[5:6], v[5:6]
	s_waitcnt_depctr 0xfff
	v_mul_f64 v[46:47], v[44:45], v[17:18]
	v_mul_f64 v[17:18], v[17:18], 0.5
	v_lshlrev_b32_e32 v43, 30, v0
	v_fma_f64 v[52:53], v[48:49], s[48:49], s[46:47]
	v_fma_f64 v[54:55], v[48:49], s[62:63], s[60:61]
	s_delay_alu instid0(VALU_DEP_4) | instskip(SKIP_1) | instid1(VALU_DEP_4)
	v_fma_f64 v[50:51], -v[17:18], v[46:47], 0.5
	v_mul_f64 v[56:57], v[5:6], v[48:49]
	v_fma_f64 v[52:53], v[48:49], v[52:53], s[50:51]
	s_delay_alu instid0(VALU_DEP_4) | instskip(NEXT) | instid1(VALU_DEP_4)
	v_fma_f64 v[54:55], v[48:49], v[54:55], s[64:65]
	v_fma_f64 v[46:47], v[46:47], v[50:51], v[46:47]
	;; [unrolled: 1-line block ×3, first 2 shown]
	s_delay_alu instid0(VALU_DEP_4) | instskip(NEXT) | instid1(VALU_DEP_4)
	v_fma_f64 v[52:53], v[48:49], v[52:53], s[52:53]
	v_fma_f64 v[54:55], v[48:49], v[54:55], s[66:67]
	s_delay_alu instid0(VALU_DEP_4) | instskip(NEXT) | instid1(VALU_DEP_1)
	v_fma_f64 v[50:51], -v[46:47], v[46:47], v[44:45]
	v_fma_f64 v[46:47], v[50:51], v[17:18], v[46:47]
	s_delay_alu instid0(VALU_DEP_4) | instskip(NEXT) | instid1(VALU_DEP_4)
	v_fma_f64 v[50:51], v[48:49], v[52:53], s[54:55]
	v_fma_f64 v[52:53], v[48:49], v[54:55], s[68:69]
	s_delay_alu instid0(VALU_DEP_3) | instskip(NEXT) | instid1(VALU_DEP_3)
	v_fma_f64 v[54:55], -v[46:47], v[46:47], v[44:45]
	v_fma_f64 v[50:51], v[48:49], v[50:51], s[56:57]
	s_delay_alu instid0(VALU_DEP_3) | instskip(NEXT) | instid1(VALU_DEP_3)
	v_fma_f64 v[52:53], v[48:49], v[52:53], s[70:71]
	v_fma_f64 v[17:18], v[54:55], v[17:18], v[46:47]
	s_delay_alu instid0(VALU_DEP_3) | instskip(NEXT) | instid1(VALU_DEP_3)
	v_mul_f64 v[46:47], v[56:57], v[50:51]
	v_fma_f64 v[50:51], v[48:49], v[52:53], s[72:73]
	s_delay_alu instid0(VALU_DEP_3) | instskip(NEXT) | instid1(VALU_DEP_3)
	v_ldexp_f64 v[17:18], v[17:18], v7
	v_fma_f64 v[7:8], v[5:6], s[58:59], v[46:47]
	s_delay_alu instid0(VALU_DEP_3) | instskip(NEXT) | instid1(VALU_DEP_3)
	v_fma_f64 v[15:16], v[48:49], v[50:51], 1.0
	v_dual_cndmask_b32 v6, v18, v45 :: v_dual_and_b32 v5, 1, v0
	s_delay_alu instid0(VALU_DEP_1)
	v_cmp_eq_u32_e64 s1, 0, v5
	v_cndmask_b32_e32 v5, v17, v44, vcc_lo
	v_cmpx_gt_i64_e64 s[16:17], v[12:13]
	s_cbranch_execz .LBB13_34
; %bb.20:                               ;   in Loop: Header=BB13_9 Depth=1
	s_and_not1_b32 vcc_lo, exec_lo, s11
	s_cbranch_vccnz .LBB13_26
; %bb.21:                               ;   in Loop: Header=BB13_9 Depth=1
	v_mov_b32_e32 v0, 0
	s_and_not1_b32 vcc_lo, exec_lo, s80
	s_cbranch_vccnz .LBB13_30
; %bb.22:                               ;   in Loop: Header=BB13_9 Depth=1
	s_and_not1_b32 vcc_lo, exec_lo, s83
	s_mov_b32 s2, 0
	s_cbranch_vccnz .LBB13_27
; %bb.23:                               ;   in Loop: Header=BB13_9 Depth=1
	v_dual_mov_b32 v0, 0 :: v_dual_mov_b32 v17, v12
	s_mov_b32 s87, 0
	s_mov_b64 s[2:3], s[20:21]
	s_mov_b64 s[76:77], s[24:25]
.LBB13_24:                              ;   Parent Loop BB13_9 Depth=1
                                        ; =>  This Inner Loop Header: Depth=2
	s_clause 0x1
	s_load_b256 s[88:95], s[2:3], 0x4
	s_load_b128 s[96:99], s[2:3], 0x24
	s_load_b128 s[100:103], s[76:77], 0x0
	s_add_u32 s2, s2, 48
	s_addc_u32 s3, s3, 0
	s_add_i32 s87, s87, 4
	s_add_u32 s76, s76, 16
	s_addc_u32 s77, s77, 0
	s_cmp_lg_u32 s84, s87
	s_waitcnt lgkmcnt(0)
	v_mul_hi_u32 v18, s89, v17
	s_delay_alu instid0(VALU_DEP_1) | instskip(NEXT) | instid1(VALU_DEP_1)
	v_add_nc_u32_e32 v18, v17, v18
	v_lshrrev_b32_e32 v18, s90, v18
	s_delay_alu instid0(VALU_DEP_1) | instskip(SKIP_1) | instid1(VALU_DEP_2)
	v_mul_hi_u32 v44, s92, v18
	v_mul_lo_u32 v47, v18, s88
	v_add_nc_u32_e32 v44, v18, v44
	s_delay_alu instid0(VALU_DEP_2) | instskip(NEXT) | instid1(VALU_DEP_2)
	v_sub_nc_u32_e32 v47, v17, v47
	v_lshrrev_b32_e32 v44, s93, v44
	s_delay_alu instid0(VALU_DEP_2) | instskip(NEXT) | instid1(VALU_DEP_2)
	v_mul_lo_u32 v47, v47, s100
	v_mul_hi_u32 v45, s95, v44
	v_mul_lo_u32 v48, v44, s91
	s_delay_alu instid0(VALU_DEP_2) | instskip(NEXT) | instid1(VALU_DEP_2)
	v_add_nc_u32_e32 v45, v44, v45
	v_sub_nc_u32_e32 v18, v18, v48
	s_delay_alu instid0(VALU_DEP_2) | instskip(NEXT) | instid1(VALU_DEP_2)
	v_lshrrev_b32_e32 v45, s96, v45
	v_mul_lo_u32 v18, v18, s101
	s_delay_alu instid0(VALU_DEP_2) | instskip(NEXT) | instid1(VALU_DEP_2)
	v_mul_hi_u32 v46, s98, v45
	v_add3_u32 v0, v47, v0, v18
	s_delay_alu instid0(VALU_DEP_2) | instskip(NEXT) | instid1(VALU_DEP_1)
	v_add_nc_u32_e32 v46, v45, v46
	v_lshrrev_b32_e32 v17, s99, v46
	v_mul_lo_u32 v46, v45, s94
	s_delay_alu instid0(VALU_DEP_2) | instskip(NEXT) | instid1(VALU_DEP_2)
	v_mul_lo_u32 v49, v17, s97
	v_sub_nc_u32_e32 v44, v44, v46
	s_delay_alu instid0(VALU_DEP_2) | instskip(NEXT) | instid1(VALU_DEP_2)
	v_sub_nc_u32_e32 v45, v45, v49
	v_mul_lo_u32 v44, v44, s102
	s_delay_alu instid0(VALU_DEP_2) | instskip(NEXT) | instid1(VALU_DEP_1)
	v_mul_lo_u32 v45, v45, s103
	v_add3_u32 v0, v44, v0, v45
	s_cbranch_scc1 .LBB13_24
; %bb.25:                               ;   in Loop: Header=BB13_9 Depth=1
	s_mov_b32 s2, s84
	s_and_not1_b32 vcc_lo, exec_lo, s86
	s_cbranch_vccz .LBB13_28
	s_branch .LBB13_30
.LBB13_26:                              ;   in Loop: Header=BB13_9 Depth=1
                                        ; implicit-def: $vgpr0
	s_branch .LBB13_31
.LBB13_27:                              ;   in Loop: Header=BB13_9 Depth=1
	v_mov_b32_e32 v17, v12
	s_and_not1_b32 vcc_lo, exec_lo, s86
	s_cbranch_vccnz .LBB13_30
.LBB13_28:                              ;   in Loop: Header=BB13_9 Depth=1
	s_lshl_b32 s3, s2, 2
	s_mul_i32 s76, s2, 12
	s_add_u32 s2, s24, s3
	s_addc_u32 s3, s25, 0
	s_add_u32 s76, s20, s76
	s_addc_u32 s77, s21, 0
	s_mov_b32 s87, s82
	.p2align	6
.LBB13_29:                              ;   Parent Loop BB13_9 Depth=1
                                        ; =>  This Inner Loop Header: Depth=2
	s_clause 0x1
	s_load_b64 s[88:89], s[76:77], 0x4
	s_load_b32 s90, s[76:77], 0xc
	s_add_u32 s76, s76, 12
	s_addc_u32 s77, s77, 0
	s_waitcnt lgkmcnt(0)
	v_mul_hi_u32 v18, s89, v17
	s_load_b32 s89, s[2:3], 0x0
	s_add_u32 s2, s2, 4
	s_addc_u32 s3, s3, 0
	s_add_i32 s87, s87, -1
	s_delay_alu instid0(SALU_CYCLE_1) | instskip(NEXT) | instid1(VALU_DEP_1)
	s_cmp_lg_u32 s87, 0
	v_add_nc_u32_e32 v18, v17, v18
	s_delay_alu instid0(VALU_DEP_1) | instskip(NEXT) | instid1(VALU_DEP_1)
	v_lshrrev_b32_e32 v18, s90, v18
	v_mul_lo_u32 v44, v18, s88
	s_delay_alu instid0(VALU_DEP_1) | instskip(SKIP_1) | instid1(VALU_DEP_1)
	v_sub_nc_u32_e32 v17, v17, v44
	s_waitcnt lgkmcnt(0)
	v_mad_u64_u32 v[44:45], null, v17, s89, v[0:1]
	s_delay_alu instid0(VALU_DEP_1)
	v_dual_mov_b32 v17, v18 :: v_dual_mov_b32 v0, v44
	s_cbranch_scc1 .LBB13_29
.LBB13_30:                              ;   in Loop: Header=BB13_9 Depth=1
	s_cbranch_execnz .LBB13_33
.LBB13_31:                              ;   in Loop: Header=BB13_9 Depth=1
	v_mul_hi_u32 v0, v12, s6
	s_and_not1_b32 vcc_lo, exec_lo, s4
	s_delay_alu instid0(VALU_DEP_1) | instskip(NEXT) | instid1(VALU_DEP_1)
	v_add_nc_u32_e32 v0, v0, v12
	v_lshrrev_b32_e32 v17, s7, v0
	s_delay_alu instid0(VALU_DEP_1) | instskip(NEXT) | instid1(VALU_DEP_1)
	v_mul_lo_u32 v0, v17, s5
	v_sub_nc_u32_e32 v0, v12, v0
	s_delay_alu instid0(VALU_DEP_1)
	v_mul_lo_u32 v0, v0, s22
	s_cbranch_vccnz .LBB13_33
; %bb.32:                               ;   in Loop: Header=BB13_9 Depth=1
	v_mul_hi_u32 v18, s9, v17
	s_delay_alu instid0(VALU_DEP_1) | instskip(NEXT) | instid1(VALU_DEP_1)
	v_add_nc_u32_e32 v18, v17, v18
	v_lshrrev_b32_e32 v18, s10, v18
	s_delay_alu instid0(VALU_DEP_1) | instskip(NEXT) | instid1(VALU_DEP_1)
	v_mul_lo_u32 v18, v18, s8
	v_sub_nc_u32_e32 v44, v17, v18
	s_delay_alu instid0(VALU_DEP_1) | instskip(NEXT) | instid1(VALU_DEP_1)
	v_mad_u64_u32 v[17:18], null, v44, s23, v[0:1]
	v_mov_b32_e32 v0, v17
.LBB13_33:                              ;   in Loop: Header=BB13_9 Depth=1
	v_xor_b32_e32 v9, v43, v9
	v_cndmask_b32_e64 v17, v16, v8, s1
	v_cndmask_b32_e64 v18, v15, v7, s1
	s_delay_alu instid0(VALU_DEP_3) | instskip(NEXT) | instid1(VALU_DEP_1)
	v_and_b32_e32 v9, 0x80000000, v9
	v_xor_b32_e32 v9, v17, v9
	s_delay_alu instid0(VALU_DEP_3) | instskip(NEXT) | instid1(VALU_DEP_2)
	v_cndmask_b32_e64 v17, 0, v18, s0
	v_cndmask_b32_e64 v18, 0x7ff80000, v9, s0
	s_delay_alu instid0(VALU_DEP_1) | instskip(NEXT) | instid1(VALU_DEP_1)
	v_mul_f64 v[17:18], v[5:6], v[17:18]
	v_cvt_f32_f64_e32 v9, v[17:18]
	s_delay_alu instid0(VALU_DEP_1) | instskip(NEXT) | instid1(VALU_DEP_1)
	v_fma_f32 v9, s15, v9, s14
	v_mul_f32_e32 v17, 0x3fb8aa3b, v9
	v_cmp_ngt_f32_e32 vcc_lo, 0xc2ce8ed0, v9
	s_delay_alu instid0(VALU_DEP_2) | instskip(SKIP_1) | instid1(VALU_DEP_1)
	v_fma_f32 v18, 0x3fb8aa3b, v9, -v17
	v_rndne_f32_e32 v44, v17
	v_dual_fmac_f32 v18, 0x32a5705f, v9 :: v_dual_sub_f32 v17, v17, v44
	s_delay_alu instid0(VALU_DEP_1) | instskip(SKIP_1) | instid1(VALU_DEP_2)
	v_add_f32_e32 v17, v17, v18
	v_cvt_i32_f32_e32 v18, v44
	v_exp_f32_e32 v17, v17
	s_waitcnt_depctr 0xfff
	v_ldexp_f32 v17, v17, v18
	s_delay_alu instid0(VALU_DEP_1) | instskip(SKIP_1) | instid1(VALU_DEP_2)
	v_cndmask_b32_e32 v17, 0, v17, vcc_lo
	v_cmp_nlt_f32_e32 vcc_lo, 0x42b17218, v9
	v_cndmask_b32_e32 v9, 0x7f800000, v17, vcc_lo
	s_delay_alu instid0(VALU_DEP_1) | instskip(SKIP_1) | instid1(VALU_DEP_2)
	v_bfe_u32 v17, v9, 16, 1
	v_cmp_o_f32_e32 vcc_lo, v9, v9
	v_add3_u32 v17, v9, v17, 0x7fff
	s_delay_alu instid0(VALU_DEP_1) | instskip(NEXT) | instid1(VALU_DEP_1)
	v_lshrrev_b32_e32 v17, 16, v17
	v_cndmask_b32_e32 v9, 0x7fc0, v17, vcc_lo
	global_store_b16 v0, v9, s[12:13]
.LBB13_34:                              ;   in Loop: Header=BB13_9 Depth=1
	s_or_b32 exec_lo, exec_lo, s75
	v_add_co_u32 v17, vcc_lo, v12, s33
	v_add_co_ci_u32_e32 v18, vcc_lo, 0, v13, vcc_lo
	s_mov_b32 s75, exec_lo
	s_delay_alu instid0(VALU_DEP_1)
	v_cmpx_gt_i64_e64 s[16:17], v[17:18]
	s_cbranch_execz .LBB13_49
; %bb.35:                               ;   in Loop: Header=BB13_9 Depth=1
	s_and_not1_b32 vcc_lo, exec_lo, s11
	s_cbranch_vccnz .LBB13_41
; %bb.36:                               ;   in Loop: Header=BB13_9 Depth=1
	v_mov_b32_e32 v0, 0
	s_and_not1_b32 vcc_lo, exec_lo, s80
	s_cbranch_vccnz .LBB13_45
; %bb.37:                               ;   in Loop: Header=BB13_9 Depth=1
	s_and_not1_b32 vcc_lo, exec_lo, s83
	s_mov_b32 s2, 0
	s_cbranch_vccnz .LBB13_42
; %bb.38:                               ;   in Loop: Header=BB13_9 Depth=1
	v_dual_mov_b32 v0, 0 :: v_dual_mov_b32 v9, v17
	s_mov_b32 s87, 0
	s_mov_b64 s[2:3], s[20:21]
	s_mov_b64 s[76:77], s[24:25]
.LBB13_39:                              ;   Parent Loop BB13_9 Depth=1
                                        ; =>  This Inner Loop Header: Depth=2
	s_clause 0x1
	s_load_b256 s[88:95], s[2:3], 0x4
	s_load_b128 s[96:99], s[2:3], 0x24
	s_load_b128 s[100:103], s[76:77], 0x0
	s_add_u32 s2, s2, 48
	s_addc_u32 s3, s3, 0
	s_add_i32 s87, s87, 4
	s_add_u32 s76, s76, 16
	s_addc_u32 s77, s77, 0
	s_cmp_eq_u32 s84, s87
	s_waitcnt lgkmcnt(0)
	v_mul_hi_u32 v18, s89, v9
	s_delay_alu instid0(VALU_DEP_1) | instskip(NEXT) | instid1(VALU_DEP_1)
	v_add_nc_u32_e32 v18, v9, v18
	v_lshrrev_b32_e32 v18, s90, v18
	s_delay_alu instid0(VALU_DEP_1) | instskip(SKIP_1) | instid1(VALU_DEP_2)
	v_mul_hi_u32 v44, s92, v18
	v_mul_lo_u32 v47, v18, s88
	v_add_nc_u32_e32 v44, v18, v44
	s_delay_alu instid0(VALU_DEP_2) | instskip(NEXT) | instid1(VALU_DEP_2)
	v_sub_nc_u32_e32 v47, v9, v47
	v_lshrrev_b32_e32 v44, s93, v44
	s_delay_alu instid0(VALU_DEP_2) | instskip(NEXT) | instid1(VALU_DEP_2)
	v_mul_lo_u32 v47, v47, s100
	v_mul_hi_u32 v45, s95, v44
	v_mul_lo_u32 v48, v44, s91
	s_delay_alu instid0(VALU_DEP_2) | instskip(NEXT) | instid1(VALU_DEP_2)
	v_add_nc_u32_e32 v45, v44, v45
	v_sub_nc_u32_e32 v18, v18, v48
	s_delay_alu instid0(VALU_DEP_2) | instskip(NEXT) | instid1(VALU_DEP_2)
	v_lshrrev_b32_e32 v45, s96, v45
	v_mul_lo_u32 v18, v18, s101
	s_delay_alu instid0(VALU_DEP_2) | instskip(NEXT) | instid1(VALU_DEP_2)
	v_mul_hi_u32 v46, s98, v45
	v_add3_u32 v0, v47, v0, v18
	s_delay_alu instid0(VALU_DEP_2) | instskip(NEXT) | instid1(VALU_DEP_1)
	v_add_nc_u32_e32 v46, v45, v46
	v_lshrrev_b32_e32 v9, s99, v46
	v_mul_lo_u32 v46, v45, s94
	s_delay_alu instid0(VALU_DEP_2) | instskip(NEXT) | instid1(VALU_DEP_2)
	v_mul_lo_u32 v49, v9, s97
	v_sub_nc_u32_e32 v44, v44, v46
	s_delay_alu instid0(VALU_DEP_2) | instskip(NEXT) | instid1(VALU_DEP_2)
	v_sub_nc_u32_e32 v45, v45, v49
	v_mul_lo_u32 v44, v44, s102
	s_delay_alu instid0(VALU_DEP_2) | instskip(NEXT) | instid1(VALU_DEP_1)
	v_mul_lo_u32 v45, v45, s103
	v_add3_u32 v0, v44, v0, v45
	s_cbranch_scc0 .LBB13_39
; %bb.40:                               ;   in Loop: Header=BB13_9 Depth=1
	s_mov_b32 s2, s84
	s_and_not1_b32 vcc_lo, exec_lo, s86
	s_cbranch_vccz .LBB13_43
	s_branch .LBB13_45
.LBB13_41:                              ;   in Loop: Header=BB13_9 Depth=1
                                        ; implicit-def: $vgpr0
	s_branch .LBB13_46
.LBB13_42:                              ;   in Loop: Header=BB13_9 Depth=1
	v_mov_b32_e32 v9, v17
	s_and_not1_b32 vcc_lo, exec_lo, s86
	s_cbranch_vccnz .LBB13_45
.LBB13_43:                              ;   in Loop: Header=BB13_9 Depth=1
	s_lshl_b32 s3, s2, 2
	s_mul_i32 s76, s2, 12
	s_add_u32 s2, s24, s3
	s_addc_u32 s3, s25, 0
	s_add_u32 s76, s20, s76
	s_addc_u32 s77, s21, 0
	s_mov_b32 s87, s82
	.p2align	6
.LBB13_44:                              ;   Parent Loop BB13_9 Depth=1
                                        ; =>  This Inner Loop Header: Depth=2
	s_clause 0x1
	s_load_b64 s[88:89], s[76:77], 0x4
	s_load_b32 s90, s[76:77], 0xc
	s_add_u32 s76, s76, 12
	s_addc_u32 s77, s77, 0
	s_waitcnt lgkmcnt(0)
	v_mul_hi_u32 v18, s89, v9
	s_load_b32 s89, s[2:3], 0x0
	s_add_u32 s2, s2, 4
	s_addc_u32 s3, s3, 0
	s_add_i32 s87, s87, -1
	s_delay_alu instid0(SALU_CYCLE_1) | instskip(NEXT) | instid1(VALU_DEP_1)
	s_cmp_lg_u32 s87, 0
	v_add_nc_u32_e32 v18, v9, v18
	s_delay_alu instid0(VALU_DEP_1) | instskip(NEXT) | instid1(VALU_DEP_1)
	v_lshrrev_b32_e32 v18, s90, v18
	v_mul_lo_u32 v44, v18, s88
	s_delay_alu instid0(VALU_DEP_1) | instskip(SKIP_1) | instid1(VALU_DEP_1)
	v_sub_nc_u32_e32 v9, v9, v44
	s_waitcnt lgkmcnt(0)
	v_mad_u64_u32 v[44:45], null, v9, s89, v[0:1]
	s_delay_alu instid0(VALU_DEP_1)
	v_dual_mov_b32 v9, v18 :: v_dual_mov_b32 v0, v44
	s_cbranch_scc1 .LBB13_44
.LBB13_45:                              ;   in Loop: Header=BB13_9 Depth=1
	s_cbranch_execnz .LBB13_48
.LBB13_46:                              ;   in Loop: Header=BB13_9 Depth=1
	v_mul_hi_u32 v0, v17, s6
	s_and_not1_b32 vcc_lo, exec_lo, s4
	s_delay_alu instid0(VALU_DEP_1) | instskip(NEXT) | instid1(VALU_DEP_1)
	v_add_nc_u32_e32 v0, v0, v17
	v_lshrrev_b32_e32 v9, s7, v0
	s_delay_alu instid0(VALU_DEP_1) | instskip(NEXT) | instid1(VALU_DEP_1)
	v_mul_lo_u32 v0, v9, s5
	v_sub_nc_u32_e32 v0, v17, v0
	s_delay_alu instid0(VALU_DEP_1)
	v_mul_lo_u32 v0, v0, s22
	s_cbranch_vccnz .LBB13_48
; %bb.47:                               ;   in Loop: Header=BB13_9 Depth=1
	v_mul_hi_u32 v17, s9, v9
	s_delay_alu instid0(VALU_DEP_1) | instskip(NEXT) | instid1(VALU_DEP_1)
	v_add_nc_u32_e32 v17, v9, v17
	v_lshrrev_b32_e32 v17, s10, v17
	s_delay_alu instid0(VALU_DEP_1) | instskip(NEXT) | instid1(VALU_DEP_1)
	v_mul_lo_u32 v17, v17, s8
	v_sub_nc_u32_e32 v9, v9, v17
	s_delay_alu instid0(VALU_DEP_1) | instskip(NEXT) | instid1(VALU_DEP_1)
	v_mad_u64_u32 v[17:18], null, v9, s23, v[0:1]
	v_mov_b32_e32 v0, v17
.LBB13_48:                              ;   in Loop: Header=BB13_9 Depth=1
	v_xor_b32_e32 v8, 0x80000000, v8
	v_and_b32_e32 v9, 0x80000000, v43
	v_cndmask_b32_e64 v7, v7, v15, s1
	s_delay_alu instid0(VALU_DEP_3) | instskip(NEXT) | instid1(VALU_DEP_2)
	v_cndmask_b32_e64 v8, v8, v16, s1
	v_cndmask_b32_e64 v7, 0, v7, s0
	s_delay_alu instid0(VALU_DEP_2) | instskip(NEXT) | instid1(VALU_DEP_1)
	v_xor_b32_e32 v8, v8, v9
	v_cndmask_b32_e64 v8, 0x7ff80000, v8, s0
	s_delay_alu instid0(VALU_DEP_1) | instskip(NEXT) | instid1(VALU_DEP_1)
	v_mul_f64 v[5:6], v[5:6], v[7:8]
	v_cvt_f32_f64_e32 v5, v[5:6]
	s_delay_alu instid0(VALU_DEP_1) | instskip(NEXT) | instid1(VALU_DEP_1)
	v_fma_f32 v5, s15, v5, s14
	v_mul_f32_e32 v6, 0x3fb8aa3b, v5
	v_cmp_ngt_f32_e32 vcc_lo, 0xc2ce8ed0, v5
	s_delay_alu instid0(VALU_DEP_2) | instskip(SKIP_1) | instid1(VALU_DEP_1)
	v_fma_f32 v7, 0x3fb8aa3b, v5, -v6
	v_rndne_f32_e32 v8, v6
	v_dual_fmac_f32 v7, 0x32a5705f, v5 :: v_dual_sub_f32 v6, v6, v8
	s_delay_alu instid0(VALU_DEP_1) | instskip(SKIP_1) | instid1(VALU_DEP_2)
	v_add_f32_e32 v6, v6, v7
	v_cvt_i32_f32_e32 v7, v8
	v_exp_f32_e32 v6, v6
	s_waitcnt_depctr 0xfff
	v_ldexp_f32 v6, v6, v7
	s_delay_alu instid0(VALU_DEP_1) | instskip(SKIP_1) | instid1(VALU_DEP_2)
	v_cndmask_b32_e32 v6, 0, v6, vcc_lo
	v_cmp_nlt_f32_e32 vcc_lo, 0x42b17218, v5
	v_cndmask_b32_e32 v5, 0x7f800000, v6, vcc_lo
	s_delay_alu instid0(VALU_DEP_1) | instskip(SKIP_1) | instid1(VALU_DEP_2)
	v_bfe_u32 v6, v5, 16, 1
	v_cmp_o_f32_e32 vcc_lo, v5, v5
	v_add3_u32 v6, v5, v6, 0x7fff
	s_delay_alu instid0(VALU_DEP_1) | instskip(NEXT) | instid1(VALU_DEP_1)
	v_lshrrev_b32_e32 v6, 16, v6
	v_cndmask_b32_e32 v5, 0x7fc0, v6, vcc_lo
	global_store_b16 v0, v5, s[12:13]
.LBB13_49:                              ;   in Loop: Header=BB13_9 Depth=1
	s_or_b32 exec_lo, exec_lo, s75
	v_add_co_u32 v5, vcc_lo, v12, s81
	v_add_co_ci_u32_e32 v6, vcc_lo, 0, v13, vcc_lo
	s_mov_b32 s75, exec_lo
	s_delay_alu instid0(VALU_DEP_1)
	v_cmpx_gt_i64_e64 s[16:17], v[5:6]
	s_cbranch_execz .LBB13_64
; %bb.50:                               ;   in Loop: Header=BB13_9 Depth=1
	s_and_not1_b32 vcc_lo, exec_lo, s11
	s_cbranch_vccnz .LBB13_56
; %bb.51:                               ;   in Loop: Header=BB13_9 Depth=1
	v_mov_b32_e32 v0, 0
	s_and_not1_b32 vcc_lo, exec_lo, s80
	s_cbranch_vccnz .LBB13_60
; %bb.52:                               ;   in Loop: Header=BB13_9 Depth=1
	s_and_not1_b32 vcc_lo, exec_lo, s83
	s_mov_b32 s0, 0
	s_cbranch_vccnz .LBB13_57
; %bb.53:                               ;   in Loop: Header=BB13_9 Depth=1
	v_mov_b32_e32 v0, 0
	v_mov_b32_e32 v6, v5
	s_mov_b32 s76, 0
	s_mov_b64 s[0:1], s[20:21]
	s_mov_b64 s[2:3], s[24:25]
.LBB13_54:                              ;   Parent Loop BB13_9 Depth=1
                                        ; =>  This Inner Loop Header: Depth=2
	s_clause 0x1
	s_load_b256 s[88:95], s[0:1], 0x4
	s_load_b128 s[96:99], s[0:1], 0x24
	s_load_b128 s[100:103], s[2:3], 0x0
	s_add_u32 s0, s0, 48
	s_addc_u32 s1, s1, 0
	s_add_i32 s76, s76, 4
	s_add_u32 s2, s2, 16
	s_addc_u32 s3, s3, 0
	s_cmp_eq_u32 s84, s76
	s_waitcnt lgkmcnt(0)
	v_mul_hi_u32 v7, s89, v6
	s_delay_alu instid0(VALU_DEP_1) | instskip(NEXT) | instid1(VALU_DEP_1)
	v_add_nc_u32_e32 v7, v6, v7
	v_lshrrev_b32_e32 v7, s90, v7
	s_delay_alu instid0(VALU_DEP_1) | instskip(SKIP_1) | instid1(VALU_DEP_2)
	v_mul_hi_u32 v8, s92, v7
	v_mul_lo_u32 v16, v7, s88
	v_add_nc_u32_e32 v8, v7, v8
	s_delay_alu instid0(VALU_DEP_2) | instskip(NEXT) | instid1(VALU_DEP_2)
	v_sub_nc_u32_e32 v16, v6, v16
	v_lshrrev_b32_e32 v8, s93, v8
	s_delay_alu instid0(VALU_DEP_2) | instskip(NEXT) | instid1(VALU_DEP_2)
	v_mul_lo_u32 v16, v16, s100
	v_mul_hi_u32 v9, s95, v8
	v_mul_lo_u32 v17, v8, s91
	s_delay_alu instid0(VALU_DEP_2) | instskip(NEXT) | instid1(VALU_DEP_2)
	v_add_nc_u32_e32 v9, v8, v9
	v_sub_nc_u32_e32 v7, v7, v17
	s_delay_alu instid0(VALU_DEP_2) | instskip(NEXT) | instid1(VALU_DEP_2)
	v_lshrrev_b32_e32 v9, s96, v9
	v_mul_lo_u32 v7, v7, s101
	s_delay_alu instid0(VALU_DEP_2) | instskip(NEXT) | instid1(VALU_DEP_2)
	v_mul_hi_u32 v15, s98, v9
	v_add3_u32 v0, v16, v0, v7
	s_delay_alu instid0(VALU_DEP_2) | instskip(NEXT) | instid1(VALU_DEP_1)
	v_add_nc_u32_e32 v15, v9, v15
	v_lshrrev_b32_e32 v6, s99, v15
	v_mul_lo_u32 v15, v9, s94
	s_delay_alu instid0(VALU_DEP_2) | instskip(NEXT) | instid1(VALU_DEP_2)
	v_mul_lo_u32 v18, v6, s97
	v_sub_nc_u32_e32 v8, v8, v15
	s_delay_alu instid0(VALU_DEP_2) | instskip(NEXT) | instid1(VALU_DEP_2)
	v_sub_nc_u32_e32 v9, v9, v18
	v_mul_lo_u32 v8, v8, s102
	s_delay_alu instid0(VALU_DEP_2) | instskip(NEXT) | instid1(VALU_DEP_1)
	v_mul_lo_u32 v9, v9, s103
	v_add3_u32 v0, v8, v0, v9
	s_cbranch_scc0 .LBB13_54
; %bb.55:                               ;   in Loop: Header=BB13_9 Depth=1
	s_mov_b32 s0, s84
	s_and_not1_b32 vcc_lo, exec_lo, s86
	s_cbranch_vccz .LBB13_58
	s_branch .LBB13_60
.LBB13_56:                              ;   in Loop: Header=BB13_9 Depth=1
                                        ; implicit-def: $vgpr0
	s_branch .LBB13_61
.LBB13_57:                              ;   in Loop: Header=BB13_9 Depth=1
	v_mov_b32_e32 v6, v5
	s_and_not1_b32 vcc_lo, exec_lo, s86
	s_cbranch_vccnz .LBB13_60
.LBB13_58:                              ;   in Loop: Header=BB13_9 Depth=1
	s_lshl_b32 s1, s0, 2
	s_mul_i32 s2, s0, 12
	s_add_u32 s0, s24, s1
	s_addc_u32 s1, s25, 0
	s_add_u32 s2, s20, s2
	s_addc_u32 s3, s21, 0
	s_mov_b32 s76, s82
	.p2align	6
.LBB13_59:                              ;   Parent Loop BB13_9 Depth=1
                                        ; =>  This Inner Loop Header: Depth=2
	s_clause 0x1
	s_load_b64 s[88:89], s[2:3], 0x4
	s_load_b32 s77, s[2:3], 0xc
	s_load_b32 s87, s[0:1], 0x0
	s_add_u32 s2, s2, 12
	s_addc_u32 s3, s3, 0
	s_add_u32 s0, s0, 4
	s_addc_u32 s1, s1, 0
	s_add_i32 s76, s76, -1
	s_delay_alu instid0(SALU_CYCLE_1) | instskip(SKIP_2) | instid1(VALU_DEP_1)
	s_cmp_lg_u32 s76, 0
	s_waitcnt lgkmcnt(0)
	v_mul_hi_u32 v7, s89, v6
	v_add_nc_u32_e32 v7, v6, v7
	s_delay_alu instid0(VALU_DEP_1) | instskip(NEXT) | instid1(VALU_DEP_1)
	v_lshrrev_b32_e32 v9, s77, v7
	v_mul_lo_u32 v7, v9, s88
	s_delay_alu instid0(VALU_DEP_1) | instskip(NEXT) | instid1(VALU_DEP_1)
	v_sub_nc_u32_e32 v6, v6, v7
	v_mad_u64_u32 v[7:8], null, v6, s87, v[0:1]
	v_mov_b32_e32 v6, v9
	s_delay_alu instid0(VALU_DEP_2)
	v_mov_b32_e32 v0, v7
	s_cbranch_scc1 .LBB13_59
.LBB13_60:                              ;   in Loop: Header=BB13_9 Depth=1
	s_cbranch_execnz .LBB13_63
.LBB13_61:                              ;   in Loop: Header=BB13_9 Depth=1
	v_mul_hi_u32 v0, v5, s6
	s_and_not1_b32 vcc_lo, exec_lo, s4
	s_delay_alu instid0(VALU_DEP_1) | instskip(NEXT) | instid1(VALU_DEP_1)
	v_add_nc_u32_e32 v0, v0, v5
	v_lshrrev_b32_e32 v6, s7, v0
	s_delay_alu instid0(VALU_DEP_1) | instskip(NEXT) | instid1(VALU_DEP_1)
	v_mul_lo_u32 v0, v6, s5
	v_sub_nc_u32_e32 v0, v5, v0
	s_delay_alu instid0(VALU_DEP_1)
	v_mul_lo_u32 v0, v0, s22
	s_cbranch_vccnz .LBB13_63
; %bb.62:                               ;   in Loop: Header=BB13_9 Depth=1
	v_mul_hi_u32 v5, s9, v6
	s_delay_alu instid0(VALU_DEP_1) | instskip(NEXT) | instid1(VALU_DEP_1)
	v_add_nc_u32_e32 v5, v6, v5
	v_lshrrev_b32_e32 v5, s10, v5
	s_delay_alu instid0(VALU_DEP_1) | instskip(NEXT) | instid1(VALU_DEP_1)
	v_mul_lo_u32 v5, v5, s8
	v_sub_nc_u32_e32 v7, v6, v5
	s_delay_alu instid0(VALU_DEP_1) | instskip(NEXT) | instid1(VALU_DEP_1)
	v_mad_u64_u32 v[5:6], null, v7, s23, v[0:1]
	v_mov_b32_e32 v0, v5
.LBB13_63:                              ;   in Loop: Header=BB13_9 Depth=1
	global_store_b16 v0, v40, s[12:13]
.LBB13_64:                              ;   in Loop: Header=BB13_9 Depth=1
	s_or_b32 exec_lo, exec_lo, s75
	v_add_co_u32 v5, vcc_lo, v12, s85
	v_add_co_ci_u32_e32 v6, vcc_lo, 0, v13, vcc_lo
	s_mov_b32 s75, exec_lo
	s_delay_alu instid0(VALU_DEP_1)
	v_cmpx_gt_i64_e64 s[16:17], v[5:6]
	s_cbranch_execz .LBB13_8
; %bb.65:                               ;   in Loop: Header=BB13_9 Depth=1
	s_and_not1_b32 vcc_lo, exec_lo, s11
	s_cbranch_vccnz .LBB13_71
; %bb.66:                               ;   in Loop: Header=BB13_9 Depth=1
	v_mov_b32_e32 v0, 0
	s_and_not1_b32 vcc_lo, exec_lo, s80
	s_cbranch_vccnz .LBB13_75
; %bb.67:                               ;   in Loop: Header=BB13_9 Depth=1
	s_and_not1_b32 vcc_lo, exec_lo, s83
	s_mov_b32 s0, 0
	s_cbranch_vccnz .LBB13_72
; %bb.68:                               ;   in Loop: Header=BB13_9 Depth=1
	v_mov_b32_e32 v0, 0
	v_mov_b32_e32 v6, v5
	s_mov_b32 s76, 0
	s_mov_b64 s[0:1], s[20:21]
	s_mov_b64 s[2:3], s[24:25]
.LBB13_69:                              ;   Parent Loop BB13_9 Depth=1
                                        ; =>  This Inner Loop Header: Depth=2
	s_clause 0x1
	s_load_b256 s[88:95], s[0:1], 0x4
	s_load_b128 s[96:99], s[0:1], 0x24
	s_load_b128 s[100:103], s[2:3], 0x0
	s_add_u32 s0, s0, 48
	s_addc_u32 s1, s1, 0
	s_add_i32 s76, s76, 4
	s_add_u32 s2, s2, 16
	s_addc_u32 s3, s3, 0
	s_cmp_eq_u32 s84, s76
	s_waitcnt lgkmcnt(0)
	v_mul_hi_u32 v7, s89, v6
	s_delay_alu instid0(VALU_DEP_1) | instskip(NEXT) | instid1(VALU_DEP_1)
	v_add_nc_u32_e32 v7, v6, v7
	v_lshrrev_b32_e32 v7, s90, v7
	s_delay_alu instid0(VALU_DEP_1) | instskip(SKIP_1) | instid1(VALU_DEP_2)
	v_mul_hi_u32 v8, s92, v7
	v_mul_lo_u32 v16, v7, s88
	v_add_nc_u32_e32 v8, v7, v8
	s_delay_alu instid0(VALU_DEP_2) | instskip(NEXT) | instid1(VALU_DEP_2)
	v_sub_nc_u32_e32 v16, v6, v16
	v_lshrrev_b32_e32 v8, s93, v8
	s_delay_alu instid0(VALU_DEP_2) | instskip(NEXT) | instid1(VALU_DEP_2)
	v_mul_lo_u32 v16, v16, s100
	v_mul_hi_u32 v9, s95, v8
	v_mul_lo_u32 v17, v8, s91
	s_delay_alu instid0(VALU_DEP_2) | instskip(NEXT) | instid1(VALU_DEP_2)
	v_add_nc_u32_e32 v9, v8, v9
	v_sub_nc_u32_e32 v7, v7, v17
	s_delay_alu instid0(VALU_DEP_2) | instskip(NEXT) | instid1(VALU_DEP_2)
	v_lshrrev_b32_e32 v9, s96, v9
	v_mul_lo_u32 v7, v7, s101
	s_delay_alu instid0(VALU_DEP_2) | instskip(NEXT) | instid1(VALU_DEP_2)
	v_mul_hi_u32 v15, s98, v9
	v_add3_u32 v0, v16, v0, v7
	s_delay_alu instid0(VALU_DEP_2) | instskip(NEXT) | instid1(VALU_DEP_1)
	v_add_nc_u32_e32 v15, v9, v15
	v_lshrrev_b32_e32 v6, s99, v15
	v_mul_lo_u32 v15, v9, s94
	s_delay_alu instid0(VALU_DEP_2) | instskip(NEXT) | instid1(VALU_DEP_2)
	v_mul_lo_u32 v18, v6, s97
	v_sub_nc_u32_e32 v8, v8, v15
	s_delay_alu instid0(VALU_DEP_2) | instskip(NEXT) | instid1(VALU_DEP_2)
	v_sub_nc_u32_e32 v9, v9, v18
	v_mul_lo_u32 v8, v8, s102
	s_delay_alu instid0(VALU_DEP_2) | instskip(NEXT) | instid1(VALU_DEP_1)
	v_mul_lo_u32 v9, v9, s103
	v_add3_u32 v0, v8, v0, v9
	s_cbranch_scc0 .LBB13_69
; %bb.70:                               ;   in Loop: Header=BB13_9 Depth=1
	s_mov_b32 s0, s84
	s_and_not1_b32 vcc_lo, exec_lo, s86
	s_cbranch_vccz .LBB13_73
	s_branch .LBB13_75
.LBB13_71:                              ;   in Loop: Header=BB13_9 Depth=1
                                        ; implicit-def: $vgpr0
	s_branch .LBB13_76
.LBB13_72:                              ;   in Loop: Header=BB13_9 Depth=1
	v_mov_b32_e32 v6, v5
	s_and_not1_b32 vcc_lo, exec_lo, s86
	s_cbranch_vccnz .LBB13_75
.LBB13_73:                              ;   in Loop: Header=BB13_9 Depth=1
	s_lshl_b32 s1, s0, 2
	s_mul_i32 s2, s0, 12
	s_add_u32 s0, s24, s1
	s_addc_u32 s1, s25, 0
	s_add_u32 s2, s20, s2
	s_addc_u32 s3, s21, 0
	s_mov_b32 s76, s82
	.p2align	6
.LBB13_74:                              ;   Parent Loop BB13_9 Depth=1
                                        ; =>  This Inner Loop Header: Depth=2
	s_clause 0x1
	s_load_b64 s[88:89], s[2:3], 0x4
	s_load_b32 s77, s[2:3], 0xc
	s_load_b32 s87, s[0:1], 0x0
	s_add_u32 s2, s2, 12
	s_addc_u32 s3, s3, 0
	s_add_u32 s0, s0, 4
	s_addc_u32 s1, s1, 0
	s_add_i32 s76, s76, -1
	s_delay_alu instid0(SALU_CYCLE_1) | instskip(SKIP_2) | instid1(VALU_DEP_1)
	s_cmp_lg_u32 s76, 0
	s_waitcnt lgkmcnt(0)
	v_mul_hi_u32 v7, s89, v6
	v_add_nc_u32_e32 v7, v6, v7
	s_delay_alu instid0(VALU_DEP_1) | instskip(NEXT) | instid1(VALU_DEP_1)
	v_lshrrev_b32_e32 v9, s77, v7
	v_mul_lo_u32 v7, v9, s88
	s_delay_alu instid0(VALU_DEP_1) | instskip(NEXT) | instid1(VALU_DEP_1)
	v_sub_nc_u32_e32 v6, v6, v7
	v_mad_u64_u32 v[7:8], null, v6, s87, v[0:1]
	v_mov_b32_e32 v6, v9
	s_delay_alu instid0(VALU_DEP_2)
	v_mov_b32_e32 v0, v7
	s_cbranch_scc1 .LBB13_74
.LBB13_75:                              ;   in Loop: Header=BB13_9 Depth=1
	s_cbranch_execnz .LBB13_7
.LBB13_76:                              ;   in Loop: Header=BB13_9 Depth=1
	v_mul_hi_u32 v0, v5, s6
	s_and_not1_b32 vcc_lo, exec_lo, s4
	s_delay_alu instid0(VALU_DEP_1) | instskip(NEXT) | instid1(VALU_DEP_1)
	v_add_nc_u32_e32 v0, v0, v5
	v_lshrrev_b32_e32 v6, s7, v0
	s_delay_alu instid0(VALU_DEP_1) | instskip(NEXT) | instid1(VALU_DEP_1)
	v_mul_lo_u32 v0, v6, s5
	v_sub_nc_u32_e32 v0, v5, v0
	s_delay_alu instid0(VALU_DEP_1)
	v_mul_lo_u32 v0, v0, s22
	s_cbranch_vccnz .LBB13_7
; %bb.77:                               ;   in Loop: Header=BB13_9 Depth=1
	v_mul_hi_u32 v5, s9, v6
	s_delay_alu instid0(VALU_DEP_1) | instskip(NEXT) | instid1(VALU_DEP_1)
	v_add_nc_u32_e32 v5, v6, v5
	v_lshrrev_b32_e32 v5, s10, v5
	s_delay_alu instid0(VALU_DEP_1) | instskip(NEXT) | instid1(VALU_DEP_1)
	v_mul_lo_u32 v5, v5, s8
	v_sub_nc_u32_e32 v7, v6, v5
	s_delay_alu instid0(VALU_DEP_1) | instskip(NEXT) | instid1(VALU_DEP_1)
	v_mad_u64_u32 v[5:6], null, v7, s23, v[0:1]
	v_mov_b32_e32 v0, v5
	s_branch .LBB13_7
.LBB13_78:
	s_endpgm
.LBB13_79:
                                        ; implicit-def: $sgpr2_sgpr3
	s_branch .LBB13_4
	.section	.rodata,"a",@progbits
	.p2align	6, 0x0
	.amdhsa_kernel _ZN2at6native12_GLOBAL__N_143distribution_elementwise_grid_stride_kernelIfLi4EZNS0_9templates4cuda20normal_and_transformIN3c108BFloat16EfPNS_17CUDAGeneratorImplEZZZNS4_17log_normal_kernelIS9_EEvRNS_18TensorIteratorBaseEddT_ENKUlvE_clEvENKUlvE2_clEvEUlfE_EEvSC_T1_T2_EUlP25hiprandStatePhilox4_32_10E_ZNS1_27distribution_nullary_kernelIS7_f15HIP_vector_typeIdLj2EES9_SL_SG_EEvSC_SI_RKT3_T4_EUlifE0_EEvlNS_15PhiloxCudaStateESH_SI_
		.amdhsa_group_segment_fixed_size 0
		.amdhsa_private_segment_fixed_size 0
		.amdhsa_kernarg_size 584
		.amdhsa_user_sgpr_count 15
		.amdhsa_user_sgpr_dispatch_ptr 0
		.amdhsa_user_sgpr_queue_ptr 0
		.amdhsa_user_sgpr_kernarg_segment_ptr 1
		.amdhsa_user_sgpr_dispatch_id 0
		.amdhsa_user_sgpr_private_segment_size 0
		.amdhsa_wavefront_size32 1
		.amdhsa_uses_dynamic_stack 0
		.amdhsa_enable_private_segment 0
		.amdhsa_system_sgpr_workgroup_id_x 1
		.amdhsa_system_sgpr_workgroup_id_y 0
		.amdhsa_system_sgpr_workgroup_id_z 0
		.amdhsa_system_sgpr_workgroup_info 0
		.amdhsa_system_vgpr_workitem_id 0
		.amdhsa_next_free_vgpr 58
		.amdhsa_next_free_sgpr 104
		.amdhsa_reserve_vcc 1
		.amdhsa_float_round_mode_32 0
		.amdhsa_float_round_mode_16_64 0
		.amdhsa_float_denorm_mode_32 3
		.amdhsa_float_denorm_mode_16_64 3
		.amdhsa_dx10_clamp 1
		.amdhsa_ieee_mode 1
		.amdhsa_fp16_overflow 0
		.amdhsa_workgroup_processor_mode 1
		.amdhsa_memory_ordered 1
		.amdhsa_forward_progress 0
		.amdhsa_shared_vgpr_count 0
		.amdhsa_exception_fp_ieee_invalid_op 0
		.amdhsa_exception_fp_denorm_src 0
		.amdhsa_exception_fp_ieee_div_zero 0
		.amdhsa_exception_fp_ieee_overflow 0
		.amdhsa_exception_fp_ieee_underflow 0
		.amdhsa_exception_fp_ieee_inexact 0
		.amdhsa_exception_int_div_zero 0
	.end_amdhsa_kernel
	.section	.text._ZN2at6native12_GLOBAL__N_143distribution_elementwise_grid_stride_kernelIfLi4EZNS0_9templates4cuda20normal_and_transformIN3c108BFloat16EfPNS_17CUDAGeneratorImplEZZZNS4_17log_normal_kernelIS9_EEvRNS_18TensorIteratorBaseEddT_ENKUlvE_clEvENKUlvE2_clEvEUlfE_EEvSC_T1_T2_EUlP25hiprandStatePhilox4_32_10E_ZNS1_27distribution_nullary_kernelIS7_f15HIP_vector_typeIdLj2EES9_SL_SG_EEvSC_SI_RKT3_T4_EUlifE0_EEvlNS_15PhiloxCudaStateESH_SI_,"axG",@progbits,_ZN2at6native12_GLOBAL__N_143distribution_elementwise_grid_stride_kernelIfLi4EZNS0_9templates4cuda20normal_and_transformIN3c108BFloat16EfPNS_17CUDAGeneratorImplEZZZNS4_17log_normal_kernelIS9_EEvRNS_18TensorIteratorBaseEddT_ENKUlvE_clEvENKUlvE2_clEvEUlfE_EEvSC_T1_T2_EUlP25hiprandStatePhilox4_32_10E_ZNS1_27distribution_nullary_kernelIS7_f15HIP_vector_typeIdLj2EES9_SL_SG_EEvSC_SI_RKT3_T4_EUlifE0_EEvlNS_15PhiloxCudaStateESH_SI_,comdat
.Lfunc_end13:
	.size	_ZN2at6native12_GLOBAL__N_143distribution_elementwise_grid_stride_kernelIfLi4EZNS0_9templates4cuda20normal_and_transformIN3c108BFloat16EfPNS_17CUDAGeneratorImplEZZZNS4_17log_normal_kernelIS9_EEvRNS_18TensorIteratorBaseEddT_ENKUlvE_clEvENKUlvE2_clEvEUlfE_EEvSC_T1_T2_EUlP25hiprandStatePhilox4_32_10E_ZNS1_27distribution_nullary_kernelIS7_f15HIP_vector_typeIdLj2EES9_SL_SG_EEvSC_SI_RKT3_T4_EUlifE0_EEvlNS_15PhiloxCudaStateESH_SI_, .Lfunc_end13-_ZN2at6native12_GLOBAL__N_143distribution_elementwise_grid_stride_kernelIfLi4EZNS0_9templates4cuda20normal_and_transformIN3c108BFloat16EfPNS_17CUDAGeneratorImplEZZZNS4_17log_normal_kernelIS9_EEvRNS_18TensorIteratorBaseEddT_ENKUlvE_clEvENKUlvE2_clEvEUlfE_EEvSC_T1_T2_EUlP25hiprandStatePhilox4_32_10E_ZNS1_27distribution_nullary_kernelIS7_f15HIP_vector_typeIdLj2EES9_SL_SG_EEvSC_SI_RKT3_T4_EUlifE0_EEvlNS_15PhiloxCudaStateESH_SI_
                                        ; -- End function
	.section	.AMDGPU.csdata,"",@progbits
; Kernel info:
; codeLenInByte = 7376
; NumSgprs: 106
; NumVgprs: 58
; ScratchSize: 0
; MemoryBound: 0
; FloatMode: 240
; IeeeMode: 1
; LDSByteSize: 0 bytes/workgroup (compile time only)
; SGPRBlocks: 13
; VGPRBlocks: 7
; NumSGPRsForWavesPerEU: 106
; NumVGPRsForWavesPerEU: 58
; Occupancy: 16
; WaveLimiterHint : 1
; COMPUTE_PGM_RSRC2:SCRATCH_EN: 0
; COMPUTE_PGM_RSRC2:USER_SGPR: 15
; COMPUTE_PGM_RSRC2:TRAP_HANDLER: 0
; COMPUTE_PGM_RSRC2:TGID_X_EN: 1
; COMPUTE_PGM_RSRC2:TGID_Y_EN: 0
; COMPUTE_PGM_RSRC2:TGID_Z_EN: 0
; COMPUTE_PGM_RSRC2:TIDIG_COMP_CNT: 0
	.section	.text._ZN2at6native12_GLOBAL__N_143distribution_elementwise_grid_stride_kernelIfLi4EZNS0_9templates4cuda20normal_and_transformIN3c108BFloat16EfPNS_17CUDAGeneratorImplEZZZNS4_17log_normal_kernelIS9_EEvRNS_18TensorIteratorBaseEddT_ENKUlvE_clEvENKUlvE2_clEvEUlfE_EEvSC_T1_T2_EUlP25hiprandStatePhilox4_32_10E0_ZNS1_27distribution_nullary_kernelIS7_f15HIP_vector_typeIfLj4EES9_SL_SG_EEvSC_SI_RKT3_T4_EUlifE_EEvlNS_15PhiloxCudaStateESH_SI_,"axG",@progbits,_ZN2at6native12_GLOBAL__N_143distribution_elementwise_grid_stride_kernelIfLi4EZNS0_9templates4cuda20normal_and_transformIN3c108BFloat16EfPNS_17CUDAGeneratorImplEZZZNS4_17log_normal_kernelIS9_EEvRNS_18TensorIteratorBaseEddT_ENKUlvE_clEvENKUlvE2_clEvEUlfE_EEvSC_T1_T2_EUlP25hiprandStatePhilox4_32_10E0_ZNS1_27distribution_nullary_kernelIS7_f15HIP_vector_typeIfLj4EES9_SL_SG_EEvSC_SI_RKT3_T4_EUlifE_EEvlNS_15PhiloxCudaStateESH_SI_,comdat
	.globl	_ZN2at6native12_GLOBAL__N_143distribution_elementwise_grid_stride_kernelIfLi4EZNS0_9templates4cuda20normal_and_transformIN3c108BFloat16EfPNS_17CUDAGeneratorImplEZZZNS4_17log_normal_kernelIS9_EEvRNS_18TensorIteratorBaseEddT_ENKUlvE_clEvENKUlvE2_clEvEUlfE_EEvSC_T1_T2_EUlP25hiprandStatePhilox4_32_10E0_ZNS1_27distribution_nullary_kernelIS7_f15HIP_vector_typeIfLj4EES9_SL_SG_EEvSC_SI_RKT3_T4_EUlifE_EEvlNS_15PhiloxCudaStateESH_SI_ ; -- Begin function _ZN2at6native12_GLOBAL__N_143distribution_elementwise_grid_stride_kernelIfLi4EZNS0_9templates4cuda20normal_and_transformIN3c108BFloat16EfPNS_17CUDAGeneratorImplEZZZNS4_17log_normal_kernelIS9_EEvRNS_18TensorIteratorBaseEddT_ENKUlvE_clEvENKUlvE2_clEvEUlfE_EEvSC_T1_T2_EUlP25hiprandStatePhilox4_32_10E0_ZNS1_27distribution_nullary_kernelIS7_f15HIP_vector_typeIfLj4EES9_SL_SG_EEvSC_SI_RKT3_T4_EUlifE_EEvlNS_15PhiloxCudaStateESH_SI_
	.p2align	8
	.type	_ZN2at6native12_GLOBAL__N_143distribution_elementwise_grid_stride_kernelIfLi4EZNS0_9templates4cuda20normal_and_transformIN3c108BFloat16EfPNS_17CUDAGeneratorImplEZZZNS4_17log_normal_kernelIS9_EEvRNS_18TensorIteratorBaseEddT_ENKUlvE_clEvENKUlvE2_clEvEUlfE_EEvSC_T1_T2_EUlP25hiprandStatePhilox4_32_10E0_ZNS1_27distribution_nullary_kernelIS7_f15HIP_vector_typeIfLj4EES9_SL_SG_EEvSC_SI_RKT3_T4_EUlifE_EEvlNS_15PhiloxCudaStateESH_SI_,@function
_ZN2at6native12_GLOBAL__N_143distribution_elementwise_grid_stride_kernelIfLi4EZNS0_9templates4cuda20normal_and_transformIN3c108BFloat16EfPNS_17CUDAGeneratorImplEZZZNS4_17log_normal_kernelIS9_EEvRNS_18TensorIteratorBaseEddT_ENKUlvE_clEvENKUlvE2_clEvEUlfE_EEvSC_T1_T2_EUlP25hiprandStatePhilox4_32_10E0_ZNS1_27distribution_nullary_kernelIS7_f15HIP_vector_typeIfLj4EES9_SL_SG_EEvSC_SI_RKT3_T4_EUlifE_EEvlNS_15PhiloxCudaStateESH_SI_: ; @_ZN2at6native12_GLOBAL__N_143distribution_elementwise_grid_stride_kernelIfLi4EZNS0_9templates4cuda20normal_and_transformIN3c108BFloat16EfPNS_17CUDAGeneratorImplEZZZNS4_17log_normal_kernelIS9_EEvRNS_18TensorIteratorBaseEddT_ENKUlvE_clEvENKUlvE2_clEvEUlfE_EEvSC_T1_T2_EUlP25hiprandStatePhilox4_32_10E0_ZNS1_27distribution_nullary_kernelIS7_f15HIP_vector_typeIfLj4EES9_SL_SG_EEvSC_SI_RKT3_T4_EUlifE_EEvlNS_15PhiloxCudaStateESH_SI_
; %bb.0:
	s_clause 0x2
	s_load_b64 s[8:9], s[0:1], 0x10
	s_load_b128 s[4:7], s[0:1], 0x0
	s_load_b32 s2, s[0:1], 0x20
	s_waitcnt lgkmcnt(0)
	v_dual_mov_b32 v2, s8 :: v_dual_mov_b32 v3, s9
	v_dual_mov_b32 v9, s7 :: v_dual_mov_b32 v8, s6
	s_bitcmp0_b32 s2, 0
	s_mov_b32 s2, 0
	s_cbranch_scc1 .LBB14_2
; %bb.1:
	v_dual_mov_b32 v1, s8 :: v_dual_mov_b32 v2, s9
	v_dual_mov_b32 v4, s6 :: v_dual_mov_b32 v5, s7
	s_load_b64 s[6:7], s[0:1], 0x18
	flat_load_b64 v[2:3], v[1:2]
	flat_load_b64 v[8:9], v[4:5]
	s_waitcnt vmcnt(1) lgkmcnt(0)
	v_add_co_u32 v2, vcc_lo, v2, s6
	v_add_co_ci_u32_e32 v3, vcc_lo, s7, v3, vcc_lo
.LBB14_2:
	s_clause 0x1
	s_load_b32 s3, s[0:1], 0x54
	s_load_b32 s16, s[0:1], 0x48
	s_waitcnt lgkmcnt(0)
	s_and_b32 s14, s3, 0xffff
	s_add_u32 s6, s4, -1
	s_mul_i32 s12, s16, s14
	s_addc_u32 s3, s5, -1
	s_lshl_b32 s13, s12, 2
	s_cmp_lg_u64 s[2:3], 0
	s_cbranch_scc0 .LBB14_27
; %bb.3:
	v_cvt_f32_ubyte0_e32 v1, 0
	v_cvt_f32_u32_e32 v4, s13
	s_sub_u32 s8, 0, s13
	s_subb_u32 s9, 0, 0
	s_delay_alu instid0(VALU_DEP_1) | instskip(NEXT) | instid1(VALU_DEP_1)
	v_fmamk_f32 v1, v1, 0x4f800000, v4
	v_rcp_f32_e32 v1, v1
	s_waitcnt_depctr 0xfff
	v_mul_f32_e32 v1, 0x5f7ffffc, v1
	s_delay_alu instid0(VALU_DEP_1) | instskip(NEXT) | instid1(VALU_DEP_1)
	v_mul_f32_e32 v4, 0x2f800000, v1
	v_trunc_f32_e32 v4, v4
	s_delay_alu instid0(VALU_DEP_1) | instskip(SKIP_1) | instid1(VALU_DEP_2)
	v_fmamk_f32 v1, v4, 0xcf800000, v1
	v_cvt_u32_f32_e32 v4, v4
	v_cvt_u32_f32_e32 v1, v1
	s_delay_alu instid0(VALU_DEP_2) | instskip(NEXT) | instid1(VALU_DEP_2)
	v_readfirstlane_b32 s2, v4
	v_readfirstlane_b32 s7, v1
	s_delay_alu instid0(VALU_DEP_2) | instskip(NEXT) | instid1(VALU_DEP_1)
	s_mul_i32 s10, s8, s2
	s_mul_hi_u32 s17, s8, s7
	s_mul_i32 s11, s9, s7
	s_add_i32 s10, s17, s10
	s_mul_i32 s18, s8, s7
	s_add_i32 s10, s10, s11
	s_mul_hi_u32 s17, s7, s18
	s_mul_hi_u32 s19, s2, s18
	s_mul_i32 s11, s2, s18
	s_mul_hi_u32 s18, s7, s10
	s_mul_i32 s7, s7, s10
	s_mul_hi_u32 s20, s2, s10
	s_add_u32 s7, s17, s7
	s_addc_u32 s17, 0, s18
	s_add_u32 s7, s7, s11
	s_mul_i32 s10, s2, s10
	s_addc_u32 s7, s17, s19
	s_addc_u32 s11, s20, 0
	s_add_u32 s7, s7, s10
	s_addc_u32 s10, 0, s11
	v_add_co_u32 v1, s7, v1, s7
	s_delay_alu instid0(VALU_DEP_1) | instskip(SKIP_1) | instid1(VALU_DEP_1)
	s_cmp_lg_u32 s7, 0
	s_addc_u32 s2, s2, s10
	v_readfirstlane_b32 s7, v1
	s_mul_i32 s10, s8, s2
	s_delay_alu instid0(VALU_DEP_1)
	s_mul_hi_u32 s11, s8, s7
	s_mul_i32 s9, s9, s7
	s_add_i32 s10, s11, s10
	s_mul_i32 s8, s8, s7
	s_add_i32 s10, s10, s9
	s_mul_hi_u32 s11, s2, s8
	s_mul_i32 s17, s2, s8
	s_mul_hi_u32 s8, s7, s8
	s_mul_hi_u32 s18, s7, s10
	s_mul_i32 s7, s7, s10
	s_mul_hi_u32 s9, s2, s10
	s_add_u32 s7, s8, s7
	s_addc_u32 s8, 0, s18
	s_add_u32 s7, s7, s17
	s_mul_i32 s10, s2, s10
	s_addc_u32 s7, s8, s11
	s_addc_u32 s8, s9, 0
	s_add_u32 s7, s7, s10
	s_addc_u32 s8, 0, s8
	v_add_co_u32 v1, s7, v1, s7
	s_delay_alu instid0(VALU_DEP_1) | instskip(SKIP_2) | instid1(VALU_DEP_1)
	s_cmp_lg_u32 s7, 0
	s_addc_u32 s7, s2, s8
	s_ashr_i32 s8, s3, 31
	v_readfirstlane_b32 s10, v1
	s_add_u32 s2, s6, s8
	s_mov_b32 s9, s8
	s_addc_u32 s3, s3, s8
	s_delay_alu instid0(SALU_CYCLE_1) | instskip(NEXT) | instid1(SALU_CYCLE_1)
	s_xor_b64 s[2:3], s[2:3], s[8:9]
	s_mul_i32 s17, s2, s7
	s_mul_hi_u32 s18, s2, s10
	s_mul_hi_u32 s11, s2, s7
	;; [unrolled: 1-line block ×3, first 2 shown]
	s_mul_i32 s10, s3, s10
	s_add_u32 s17, s18, s17
	s_addc_u32 s11, 0, s11
	s_mul_hi_u32 s19, s3, s7
	s_add_u32 s10, s17, s10
	s_mul_i32 s7, s3, s7
	s_addc_u32 s10, s11, s20
	s_addc_u32 s11, s19, 0
	s_add_u32 s7, s10, s7
	s_addc_u32 s10, 0, s11
	s_mul_i32 s17, s13, s7
	s_add_u32 s11, s7, 1
	v_sub_co_u32 v1, s2, s2, s17
	s_mul_hi_u32 s17, s13, s7
	s_addc_u32 s18, s10, 0
	s_mul_i32 s19, s13, s10
	s_delay_alu instid0(VALU_DEP_1)
	v_sub_co_u32 v4, s20, v1, s13
	s_add_u32 s21, s7, 2
	s_addc_u32 s22, s10, 0
	s_add_i32 s17, s17, s19
	s_cmp_lg_u32 s2, 0
	v_readfirstlane_b32 s2, v4
	s_subb_u32 s3, s3, s17
	s_cmp_lg_u32 s20, 0
	s_subb_u32 s17, s3, 0
	s_delay_alu instid0(VALU_DEP_1) | instskip(SKIP_4) | instid1(SALU_CYCLE_1)
	s_cmp_ge_u32 s2, s13
	s_cselect_b32 s2, -1, 0
	s_cmp_eq_u32 s17, 0
	v_readfirstlane_b32 s17, v1
	s_cselect_b32 s2, s2, -1
	s_cmp_lg_u32 s2, 0
	s_cselect_b32 s2, s21, s11
	s_cselect_b32 s11, s22, s18
	s_cmp_ge_u32 s17, s13
	s_cselect_b32 s17, -1, 0
	s_cmp_eq_u32 s3, 0
	s_cselect_b32 s3, s17, -1
	s_delay_alu instid0(SALU_CYCLE_1) | instskip(SKIP_2) | instid1(SALU_CYCLE_1)
	s_cmp_lg_u32 s3, 0
	s_cselect_b32 s3, s11, s10
	s_cselect_b32 s2, s2, s7
	s_xor_b64 s[2:3], s[2:3], s[8:9]
	s_delay_alu instid0(SALU_CYCLE_1)
	s_sub_u32 s2, s2, s8
	s_subb_u32 s3, s3, s8
	s_cbranch_execnz .LBB14_5
.LBB14_4:
	v_cvt_f32_u32_e32 v1, s13
	s_sub_i32 s3, 0, s13
	s_delay_alu instid0(VALU_DEP_1) | instskip(SKIP_2) | instid1(VALU_DEP_1)
	v_rcp_iflag_f32_e32 v1, v1
	s_waitcnt_depctr 0xfff
	v_mul_f32_e32 v1, 0x4f7ffffe, v1
	v_cvt_u32_f32_e32 v1, v1
	s_delay_alu instid0(VALU_DEP_1) | instskip(NEXT) | instid1(VALU_DEP_1)
	v_readfirstlane_b32 s2, v1
	s_mul_i32 s3, s3, s2
	s_delay_alu instid0(SALU_CYCLE_1) | instskip(NEXT) | instid1(SALU_CYCLE_1)
	s_mul_hi_u32 s3, s2, s3
	s_add_i32 s2, s2, s3
	s_delay_alu instid0(SALU_CYCLE_1) | instskip(NEXT) | instid1(SALU_CYCLE_1)
	s_mul_hi_u32 s2, s6, s2
	s_mul_i32 s3, s2, s13
	s_delay_alu instid0(SALU_CYCLE_1)
	s_sub_i32 s3, s6, s3
	s_add_i32 s6, s2, 1
	s_sub_i32 s7, s3, s13
	s_cmp_ge_u32 s3, s13
	s_cselect_b32 s2, s6, s2
	s_cselect_b32 s3, s7, s3
	s_add_i32 s6, s2, 1
	s_cmp_ge_u32 s3, s13
	s_mov_b32 s3, 0
	s_cselect_b32 s2, s6, s2
.LBB14_5:
	v_mov_b32_e32 v1, 0
	s_add_u32 s2, s2, 1
	s_addc_u32 s3, s3, 0
	s_mul_hi_u32 s6, s12, s2
	s_mul_i32 s3, s12, s3
	v_mad_u64_u32 v[10:11], null, s14, s15, v[0:1]
	s_mul_hi_u32 s7, s16, s14
	s_add_i32 s3, s6, s3
	s_mul_i32 s7, s7, s2
	s_mul_i32 s2, s12, s2
	s_add_i32 s3, s3, s7
	s_mov_b32 s6, exec_lo
	s_lshl_b64 s[2:3], s[2:3], 2
	s_delay_alu instid0(SALU_CYCLE_1)
	v_cmpx_gt_i64_e64 s[2:3], v[10:11]
	s_cbranch_execz .LBB14_26
; %bb.6:
	v_alignbit_b32 v14, v3, v2, 2
	v_mad_u64_u32 v[6:7], null, 0xcd9e8d57, v10, 0
	v_lshrrev_b32_e32 v15, 2, v3
	s_waitcnt vmcnt(0)
	v_dual_mov_b32 v35, v9 :: v_dual_and_b32 v26, 3, v2
	v_mad_u64_u32 v[4:5], null, 0xd2511f53, v14, 0
	v_add_co_u32 v17, null, 0x9e3779b9, v8
	v_xor3_b32 v3, v8, v7, v15
	s_delay_alu instid0(VALU_DEP_4) | instskip(SKIP_2) | instid1(VALU_DEP_4)
	v_add_co_u32 v16, null, 0xbb67ae85, v35
	v_add_co_u32 v18, null, 0x3c6ef372, v8
	v_xor_b32_e32 v1, v5, v9
	v_mad_u64_u32 v[12:13], null, 0xd2511f53, v3, 0
	v_add_co_u32 v19, null, 0x76cf5d0a, v35
	s_delay_alu instid0(VALU_DEP_3) | instskip(SKIP_2) | instid1(VALU_DEP_3)
	v_xor_b32_e32 v1, v1, v11
	v_add_co_u32 v22, null, 0x78dde6e4, v8
	v_add_co_u32 v23, null, 0xed9eba14, v35
	v_mad_u64_u32 v[20:21], null, 0xcd9e8d57, v1, 0
	v_xor3_b32 v1, v16, v13, v4
	v_add_co_u32 v24, null, 0xa9066899, v35
	v_add_co_u32 v25, null, 0x1715609d, v8
	s_delay_alu instid0(VALU_DEP_3) | instskip(SKIP_3) | instid1(VALU_DEP_3)
	v_mad_u64_u32 v[3:4], null, 0xcd9e8d57, v1, 0
	v_xor3_b32 v7, v17, v21, v6
	v_add_co_u32 v21, null, 0xdaa66d2b, v8
	v_add_co_u32 v31, null, 0x646e171e, v35
	v_mad_u64_u32 v[5:6], null, 0xd2511f53, v7, 0
	v_xor3_b32 v1, v18, v4, v20
	v_add_co_u32 v20, null, 0x32370b8f, v35
	v_add_co_u32 v33, null, 0x1fd5c5a3, v35
	s_clause 0x1
	s_load_b128 s[8:11], s[0:1], 0x38
	s_load_b64 s[6:7], s[0:1], 0x30
	s_delay_alu instid0(VALU_DEP_4) | instskip(SKIP_2) | instid1(VALU_DEP_3)
	v_xor3_b32 v4, v19, v6, v12
	v_mad_u64_u32 v[6:7], null, 0xd2511f53, v1, 0
	v_add_co_u32 v32, null, 0xf1bbcdc8, v8
	v_mad_u64_u32 v[12:13], null, 0xcd9e8d57, v4, 0
	v_add_co_u32 v35, null, 0xdb3d7428, v35
	s_delay_alu instid0(VALU_DEP_4) | instskip(SKIP_3) | instid1(VALU_DEP_3)
	v_xor3_b32 v1, v20, v7, v5
	s_add_i32 s18, s15, s16
	s_mul_i32 s0, s16, 3
	s_lshl_b32 s17, s16, 1
	v_xor3_b32 v5, v21, v13, v3
	v_mad_u64_u32 v[3:4], null, 0xcd9e8d57, v1, 0
	s_add_i32 s0, s15, s0
	v_dual_mov_b32 v34, v10 :: v_dual_add_nc_u32 v27, 0x8ff34781, v8
	s_delay_alu instid0(VALU_DEP_3) | instskip(SKIP_1) | instid1(VALU_DEP_4)
	v_mad_u64_u32 v[29:30], null, 0xd2511f53, v5, 0
	v_add_nc_u32_e32 v28, 0x96a522ad, v9
	v_xor3_b32 v1, v22, v4, v12
	s_mov_b32 s1, 0
	s_waitcnt lgkmcnt(0)
	s_lshl_b32 s11, s12, 1
	s_delay_alu instid0(VALU_DEP_3) | instskip(SKIP_2) | instid1(VALU_DEP_3)
	v_xor3_b32 v12, v23, v30, v6
	v_mad_u64_u32 v[4:5], null, 0xd2511f53, v1, 0
	v_add_co_u32 v30, null, 0xb54cda56, v8
	v_mad_u64_u32 v[6:7], null, 0xcd9e8d57, v12, 0
	s_delay_alu instid0(VALU_DEP_3) | instskip(SKIP_1) | instid1(VALU_DEP_3)
	v_xor3_b32 v5, v24, v5, v29
	v_add_co_u32 v29, null, 0x5384540f, v8
	v_xor3_b32 v3, v25, v7, v3
	s_delay_alu instid0(VALU_DEP_3) | instskip(NEXT) | instid1(VALU_DEP_2)
	v_mad_u64_u32 v[1:2], null, 0xcd9e8d57, v5, 0
	v_mad_u64_u32 v[12:13], null, 0xd2511f53, v3, 0
	s_delay_alu instid0(VALU_DEP_2) | instskip(NEXT) | instid1(VALU_DEP_3)
	v_xor3_b32 v5, v30, v2, v6
	v_mad_u64_u32 v[2:3], null, s15, s14, v[0:1]
	s_add_i32 s15, s15, s17
	s_delay_alu instid0(VALU_DEP_3) | instskip(NEXT) | instid1(VALU_DEP_3)
	v_xor3_b32 v7, v31, v13, v4
	v_mad_u64_u32 v[3:4], null, 0xd2511f53, v5, 0
	s_delay_alu instid0(VALU_DEP_2) | instskip(NEXT) | instid1(VALU_DEP_4)
	v_mad_u64_u32 v[5:6], null, 0xcd9e8d57, v7, 0
	v_mul_lo_u32 v36, s8, v2
	s_delay_alu instid0(VALU_DEP_3) | instskip(NEXT) | instid1(VALU_DEP_3)
	v_xor3_b32 v4, v33, v4, v12
	v_xor3_b32 v1, v29, v6, v1
	s_delay_alu instid0(VALU_DEP_2) | instskip(NEXT) | instid1(VALU_DEP_2)
	v_mad_u64_u32 v[12:13], null, 0xcd9e8d57, v4, 0
	v_mad_u64_u32 v[40:41], null, 0xd2511f53, v1, 0
	;; [unrolled: 1-line block ×3, first 2 shown]
	s_delay_alu instid0(VALU_DEP_3) | instskip(SKIP_2) | instid1(VALU_DEP_4)
	v_xor3_b32 v5, v32, v13, v5
	v_mad_u64_u32 v[37:38], null, s0, s14, v[0:1]
	s_mul_i32 s0, s16, s8
	v_xor3_b32 v7, v35, v41, v3
	v_mad_u64_u32 v[3:4], null, s15, s14, v[0:1]
	v_mad_u64_u32 v[0:1], null, 0xd2511f53, v5, 0
	s_delay_alu instid0(VALU_DEP_3)
	v_mad_u64_u32 v[4:5], null, 0xcd9e8d57, v7, 0
	v_mul_lo_u32 v37, s8, v37
	v_mul_lo_u32 v39, s8, v6
	;; [unrolled: 1-line block ×3, first 2 shown]
	s_mul_i32 s0, s0, s14
	v_mov_b32_e32 v6, v0
	s_mul_i32 s8, s12, 3
	v_xor3_b32 v3, v5, v12, v27
	v_xor3_b32 v5, v1, v40, v28
	v_mov_b32_e32 v40, v11
	s_lshl_b32 s14, s0, 2
	s_mov_b32 s15, 0
	s_branch .LBB14_8
.LBB14_7:                               ;   in Loop: Header=BB14_8 Depth=1
	s_or_b32 exec_lo, exec_lo, s0
	v_add_co_u32 v10, vcc_lo, v10, s13
	v_add_co_ci_u32_e32 v11, vcc_lo, 0, v11, vcc_lo
	v_mov_b32_e32 v3, v12
	s_add_i32 s15, s15, s14
	s_waitcnt_vscnt null, 0x0
	s_delay_alu instid0(VALU_DEP_2)
	v_cmp_le_i64_e32 vcc_lo, s[2:3], v[10:11]
	s_barrier
	v_mov_b32_e32 v6, v3
	v_dual_mov_b32 v5, v2 :: v_dual_mov_b32 v4, v1
	v_mov_b32_e32 v3, v0
	s_or_b32 s1, vcc_lo, s1
	buffer_gl0_inv
	s_and_not1_b32 exec_lo, exec_lo, s1
	s_cbranch_execz .LBB14_26
.LBB14_8:                               ; =>This Inner Loop Header: Depth=1
	v_add_co_u32 v14, vcc_lo, v14, 1
	s_delay_alu instid0(VALU_DEP_1) | instskip(SKIP_2) | instid1(VALU_DEP_1)
	v_cndmask_b32_e64 v0, 0, 1, vcc_lo
	v_add_co_ci_u32_e32 v15, vcc_lo, 0, v15, vcc_lo
	s_mov_b32 s0, exec_lo
	v_cmp_eq_u32_e32 vcc_lo, 0, v15
	s_delay_alu instid0(VALU_DEP_3) | instskip(NEXT) | instid1(VALU_DEP_1)
	v_cndmask_b32_e32 v0, 0, v0, vcc_lo
	v_add_nc_u32_e32 v34, v0, v34
	s_delay_alu instid0(VALU_DEP_1) | instskip(SKIP_2) | instid1(VALU_DEP_2)
	v_cmp_eq_u32_e32 vcc_lo, 0, v34
	v_mad_u64_u32 v[12:13], null, 0xcd9e8d57, v34, 0
	v_cndmask_b32_e32 v0, 0, v0, vcc_lo
	v_xor3_b32 v7, v13, v8, v15
	s_delay_alu instid0(VALU_DEP_2) | instskip(SKIP_1) | instid1(VALU_DEP_1)
	v_add_nc_u32_e32 v40, v0, v40
	v_mad_u64_u32 v[0:1], null, 0xd2511f53, v14, 0
	v_xor_b32_e32 v1, v1, v9
	s_delay_alu instid0(VALU_DEP_1) | instskip(SKIP_1) | instid1(VALU_DEP_2)
	v_xor_b32_e32 v13, v40, v1
	v_mad_u64_u32 v[1:2], null, 0xd2511f53, v7, 0
	v_mad_u64_u32 v[41:42], null, 0xcd9e8d57, v13, 0
	s_delay_alu instid0(VALU_DEP_2) | instskip(NEXT) | instid1(VALU_DEP_2)
	v_xor3_b32 v0, v16, v2, v0
	v_xor3_b32 v2, v17, v42, v12
	s_delay_alu instid0(VALU_DEP_2) | instskip(NEXT) | instid1(VALU_DEP_2)
	v_mad_u64_u32 v[12:13], null, 0xcd9e8d57, v0, 0
	v_mad_u64_u32 v[42:43], null, 0xd2511f53, v2, 0
	s_delay_alu instid0(VALU_DEP_2) | instskip(NEXT) | instid1(VALU_DEP_2)
	v_xor3_b32 v2, v18, v13, v41
	v_xor3_b32 v7, v19, v43, v1
	s_delay_alu instid0(VALU_DEP_2) | instskip(NEXT) | instid1(VALU_DEP_2)
	;; [unrolled: 6-line block ×8, first 2 shown]
	v_mad_u64_u32 v[12:13], null, 0xd2511f53, v0, 0
	v_mad_u64_u32 v[1:2], null, 0xcd9e8d57, v7, 0
	s_delay_alu instid0(VALU_DEP_2) | instskip(NEXT) | instid1(VALU_DEP_2)
	v_xor3_b32 v7, v13, v44, v28
	v_xor3_b32 v0, v2, v42, v27
	s_delay_alu instid0(VALU_DEP_2)
	v_mov_b32_e32 v2, v7
	v_cmpx_lt_i32_e32 1, v26
	s_xor_b32 s0, exec_lo, s0
	s_cbranch_execz .LBB14_14
; %bb.9:                                ;   in Loop: Header=BB14_8 Depth=1
	s_mov_b32 s16, exec_lo
	v_cmpx_lt_i32_e32 2, v26
	s_xor_b32 s16, exec_lo, s16
; %bb.10:                               ;   in Loop: Header=BB14_8 Depth=1
	v_dual_mov_b32 v4, v6 :: v_dual_mov_b32 v5, v0
	v_mov_b32_e32 v6, v1
	s_delay_alu instid0(VALU_DEP_2) | instskip(NEXT) | instid1(VALU_DEP_3)
	v_mov_b32_e32 v3, v4
	v_mov_b32_e32 v4, v5
	s_delay_alu instid0(VALU_DEP_3)
	v_mov_b32_e32 v5, v6
	v_mov_b32_e32 v6, v7
; %bb.11:                               ;   in Loop: Header=BB14_8 Depth=1
	s_and_not1_saveexec_b32 s16, s16
; %bb.12:                               ;   in Loop: Header=BB14_8 Depth=1
	s_delay_alu instid0(VALU_DEP_1)
	v_dual_mov_b32 v3, v5 :: v_dual_mov_b32 v4, v6
	v_dual_mov_b32 v5, v0 :: v_dual_mov_b32 v6, v1
; %bb.13:                               ;   in Loop: Header=BB14_8 Depth=1
	s_or_b32 exec_lo, exec_lo, s16
.LBB14_14:                              ;   in Loop: Header=BB14_8 Depth=1
	s_and_not1_saveexec_b32 s0, s0
	s_cbranch_execz .LBB14_18
; %bb.15:                               ;   in Loop: Header=BB14_8 Depth=1
	s_mov_b32 s16, exec_lo
	v_cmpx_eq_u32_e32 1, v26
; %bb.16:                               ;   in Loop: Header=BB14_8 Depth=1
	v_dual_mov_b32 v3, v4 :: v_dual_mov_b32 v4, v5
	v_dual_mov_b32 v5, v6 :: v_dual_mov_b32 v6, v0
; %bb.17:                               ;   in Loop: Header=BB14_8 Depth=1
	s_or_b32 exec_lo, exec_lo, s16
.LBB14_18:                              ;   in Loop: Header=BB14_8 Depth=1
	s_delay_alu instid0(SALU_CYCLE_1) | instskip(NEXT) | instid1(VALU_DEP_2)
	s_or_b32 exec_lo, exec_lo, s0
	v_cvt_f32_u32_e32 v3, v3
	v_cvt_f32_u32_e32 v4, v4
	s_delay_alu instid0(VALU_DEP_1) | instskip(NEXT) | instid1(VALU_DEP_1)
	v_fmaak_f32 v4, 0x30c90fdb, v4, 0x30c90fdb
	v_dual_fmaak_f32 v3, 0x2f800000, v3, 0x2f800000 :: v_dual_mul_f32 v4, 0.15915494, v4
	s_delay_alu instid0(VALU_DEP_1) | instskip(SKIP_1) | instid1(VALU_DEP_1)
	v_cmp_gt_f32_e32 vcc_lo, 0x800000, v3
	v_cndmask_b32_e64 v7, 1.0, 0x4f800000, vcc_lo
	v_mul_f32_e32 v3, v3, v7
	s_delay_alu instid0(VALU_DEP_1) | instskip(SKIP_2) | instid1(VALU_DEP_1)
	v_log_f32_e32 v3, v3
	s_waitcnt_depctr 0xfff
	v_mul_f32_e32 v7, 0x3f317217, v3
	v_fma_f32 v13, 0x3f317217, v3, -v7
	s_delay_alu instid0(VALU_DEP_1) | instskip(NEXT) | instid1(VALU_DEP_1)
	v_fmac_f32_e32 v13, 0x3377d1cf, v3
	v_add_f32_e32 v7, v7, v13
	v_cndmask_b32_e64 v13, 0, 0x41b17218, vcc_lo
	v_cmp_gt_f32_e64 vcc_lo, 0x7f800000, |v3|
	s_delay_alu instid0(VALU_DEP_3) | instskip(NEXT) | instid1(VALU_DEP_1)
	v_cndmask_b32_e32 v3, v3, v7, vcc_lo
	v_sub_f32_e32 v3, v3, v13
	s_delay_alu instid0(VALU_DEP_1) | instskip(NEXT) | instid1(VALU_DEP_1)
	v_mul_f32_e32 v3, -2.0, v3
	v_mul_f32_e32 v7, 0x4f800000, v3
	v_cmp_gt_f32_e32 vcc_lo, 0xf800000, v3
	s_delay_alu instid0(VALU_DEP_2) | instskip(NEXT) | instid1(VALU_DEP_1)
	v_cndmask_b32_e32 v3, v3, v7, vcc_lo
	v_sqrt_f32_e32 v7, v3
	s_waitcnt_depctr 0xfff
	v_add_nc_u32_e32 v13, -1, v7
	v_add_nc_u32_e32 v41, 1, v7
	s_delay_alu instid0(VALU_DEP_2) | instskip(NEXT) | instid1(VALU_DEP_2)
	v_fma_f32 v42, -v13, v7, v3
	v_fma_f32 v43, -v41, v7, v3
	s_delay_alu instid0(VALU_DEP_2) | instskip(NEXT) | instid1(VALU_DEP_1)
	v_cmp_ge_f32_e64 s0, 0, v42
	v_cndmask_b32_e64 v7, v7, v13, s0
	s_delay_alu instid0(VALU_DEP_3) | instskip(NEXT) | instid1(VALU_DEP_1)
	v_cmp_lt_f32_e64 s0, 0, v43
	v_cndmask_b32_e64 v7, v7, v41, s0
	v_cmp_class_f32_e64 s0, v3, 0x260
	s_delay_alu instid0(VALU_DEP_2) | instskip(NEXT) | instid1(VALU_DEP_1)
	v_mul_f32_e32 v13, 0x37800000, v7
	v_cndmask_b32_e32 v7, v7, v13, vcc_lo
	s_delay_alu instid0(VALU_DEP_1)
	v_cndmask_b32_e64 v3, v7, v3, s0
	s_mov_b32 s0, exec_lo
	v_cmpx_gt_i64_e64 s[4:5], v[10:11]
	s_cbranch_execz .LBB14_20
; %bb.19:                               ;   in Loop: Header=BB14_8 Depth=1
	v_sin_f32_e32 v7, v4
	s_waitcnt_depctr 0xfff
	v_mul_f32_e32 v7, v7, v3
	s_delay_alu instid0(VALU_DEP_1) | instskip(NEXT) | instid1(VALU_DEP_1)
	v_fma_f32 v7, s10, v7, s9
	v_mul_f32_e32 v13, 0x3fb8aa3b, v7
	v_cmp_ngt_f32_e32 vcc_lo, 0xc2ce8ed0, v7
	s_delay_alu instid0(VALU_DEP_2) | instskip(SKIP_1) | instid1(VALU_DEP_2)
	v_fma_f32 v41, 0x3fb8aa3b, v7, -v13
	v_rndne_f32_e32 v42, v13
	v_fmac_f32_e32 v41, 0x32a5705f, v7
	s_delay_alu instid0(VALU_DEP_2) | instskip(NEXT) | instid1(VALU_DEP_1)
	v_sub_f32_e32 v13, v13, v42
	v_add_f32_e32 v13, v13, v41
	v_cvt_i32_f32_e32 v41, v42
	s_delay_alu instid0(VALU_DEP_2) | instskip(SKIP_3) | instid1(VALU_DEP_2)
	v_exp_f32_e32 v13, v13
	s_waitcnt_depctr 0xfff
	v_ldexp_f32 v13, v13, v41
	v_add_nc_u32_e32 v41, s15, v36
	v_cndmask_b32_e32 v13, 0, v13, vcc_lo
	v_cmp_nlt_f32_e32 vcc_lo, 0x42b17218, v7
	s_delay_alu instid0(VALU_DEP_3) | instskip(NEXT) | instid1(VALU_DEP_3)
	v_ashrrev_i32_e32 v42, 31, v41
	v_cndmask_b32_e32 v7, 0x7f800000, v13, vcc_lo
	v_add_co_u32 v41, vcc_lo, s6, v41
	s_delay_alu instid0(VALU_DEP_3) | instskip(NEXT) | instid1(VALU_DEP_3)
	v_add_co_ci_u32_e32 v42, vcc_lo, s7, v42, vcc_lo
	v_bfe_u32 v13, v7, 16, 1
	v_cmp_o_f32_e32 vcc_lo, v7, v7
	s_delay_alu instid0(VALU_DEP_2) | instskip(NEXT) | instid1(VALU_DEP_1)
	v_add3_u32 v13, v7, v13, 0x7fff
	v_lshrrev_b32_e32 v13, 16, v13
	s_delay_alu instid0(VALU_DEP_1)
	v_cndmask_b32_e32 v7, 0x7fc0, v13, vcc_lo
	global_store_b16 v[41:42], v7, off
.LBB14_20:                              ;   in Loop: Header=BB14_8 Depth=1
	s_or_b32 exec_lo, exec_lo, s0
	v_add_co_u32 v41, vcc_lo, s12, v10
	v_add_co_ci_u32_e32 v42, vcc_lo, 0, v11, vcc_lo
	s_mov_b32 s0, exec_lo
	s_delay_alu instid0(VALU_DEP_1)
	v_cmpx_gt_i64_e64 s[4:5], v[41:42]
	s_cbranch_execz .LBB14_22
; %bb.21:                               ;   in Loop: Header=BB14_8 Depth=1
	v_cos_f32_e32 v4, v4
	s_waitcnt_depctr 0xfff
	v_mul_f32_e32 v3, v4, v3
	s_delay_alu instid0(VALU_DEP_1) | instskip(NEXT) | instid1(VALU_DEP_1)
	v_fma_f32 v3, s10, v3, s9
	v_mul_f32_e32 v4, 0x3fb8aa3b, v3
	v_cmp_ngt_f32_e32 vcc_lo, 0xc2ce8ed0, v3
	s_delay_alu instid0(VALU_DEP_2) | instskip(SKIP_1) | instid1(VALU_DEP_1)
	v_fma_f32 v7, 0x3fb8aa3b, v3, -v4
	v_rndne_f32_e32 v13, v4
	v_dual_fmac_f32 v7, 0x32a5705f, v3 :: v_dual_sub_f32 v4, v4, v13
	s_delay_alu instid0(VALU_DEP_1) | instskip(SKIP_1) | instid1(VALU_DEP_2)
	v_add_f32_e32 v4, v4, v7
	v_cvt_i32_f32_e32 v7, v13
	v_exp_f32_e32 v4, v4
	s_waitcnt_depctr 0xfff
	v_ldexp_f32 v4, v4, v7
	s_delay_alu instid0(VALU_DEP_1) | instskip(SKIP_1) | instid1(VALU_DEP_2)
	v_cndmask_b32_e32 v4, 0, v4, vcc_lo
	v_cmp_nlt_f32_e32 vcc_lo, 0x42b17218, v3
	v_cndmask_b32_e32 v7, 0x7f800000, v4, vcc_lo
	v_add_nc_u32_e32 v4, s15, v39
	s_delay_alu instid0(VALU_DEP_2) | instskip(NEXT) | instid1(VALU_DEP_2)
	v_bfe_u32 v3, v7, 16, 1
	v_ashrrev_i32_e32 v13, 31, v4
	s_delay_alu instid0(VALU_DEP_2) | instskip(NEXT) | instid1(VALU_DEP_1)
	v_add3_u32 v3, v7, v3, 0x7fff
	v_lshrrev_b32_e32 v41, 16, v3
	v_add_co_u32 v3, vcc_lo, s6, v4
	s_delay_alu instid0(VALU_DEP_4) | instskip(SKIP_1) | instid1(VALU_DEP_4)
	v_add_co_ci_u32_e32 v4, vcc_lo, s7, v13, vcc_lo
	v_cmp_o_f32_e32 vcc_lo, v7, v7
	v_cndmask_b32_e32 v7, 0x7fc0, v41, vcc_lo
	global_store_b16 v[3:4], v7, off
.LBB14_22:                              ;   in Loop: Header=BB14_8 Depth=1
	s_or_b32 exec_lo, exec_lo, s0
	v_cvt_f32_u32_e32 v3, v5
	v_cvt_f32_u32_e32 v6, v6
	s_delay_alu instid0(VALU_DEP_2) | instskip(NEXT) | instid1(VALU_DEP_2)
	v_fmaak_f32 v3, 0x2f800000, v3, 0x2f800000
	v_fmaak_f32 v6, 0x30c90fdb, v6, 0x30c90fdb
	s_delay_alu instid0(VALU_DEP_2) | instskip(SKIP_1) | instid1(VALU_DEP_1)
	v_cmp_gt_f32_e32 vcc_lo, 0x800000, v3
	v_cndmask_b32_e64 v4, 1.0, 0x4f800000, vcc_lo
	v_mul_f32_e32 v3, v3, v4
	s_delay_alu instid0(VALU_DEP_1) | instskip(SKIP_2) | instid1(VALU_DEP_1)
	v_log_f32_e32 v3, v3
	s_waitcnt_depctr 0xfff
	v_mul_f32_e32 v4, 0x3f317217, v3
	v_fma_f32 v5, 0x3f317217, v3, -v4
	s_delay_alu instid0(VALU_DEP_1) | instskip(NEXT) | instid1(VALU_DEP_1)
	v_fmac_f32_e32 v5, 0x3377d1cf, v3
	v_add_f32_e32 v4, v4, v5
	v_cndmask_b32_e64 v5, 0, 0x41b17218, vcc_lo
	v_cmp_gt_f32_e64 vcc_lo, 0x7f800000, |v3|
	s_delay_alu instid0(VALU_DEP_3) | instskip(NEXT) | instid1(VALU_DEP_1)
	v_cndmask_b32_e32 v3, v3, v4, vcc_lo
	v_sub_f32_e32 v3, v3, v5
	s_delay_alu instid0(VALU_DEP_1) | instskip(NEXT) | instid1(VALU_DEP_1)
	v_mul_f32_e32 v3, -2.0, v3
	v_cmp_gt_f32_e32 vcc_lo, 0xf800000, v3
	v_mul_f32_e32 v4, 0x4f800000, v3
	s_delay_alu instid0(VALU_DEP_1) | instskip(NEXT) | instid1(VALU_DEP_1)
	v_cndmask_b32_e32 v5, v3, v4, vcc_lo
	v_sqrt_f32_e32 v3, v5
	s_waitcnt_depctr 0xfff
	v_add_nc_u32_e32 v4, -1, v3
	v_add_nc_u32_e32 v7, 1, v3
	s_delay_alu instid0(VALU_DEP_2) | instskip(NEXT) | instid1(VALU_DEP_2)
	v_fma_f32 v13, -v4, v3, v5
	v_fma_f32 v41, -v7, v3, v5
	s_delay_alu instid0(VALU_DEP_2) | instskip(NEXT) | instid1(VALU_DEP_1)
	v_cmp_ge_f32_e64 s0, 0, v13
	v_cndmask_b32_e64 v3, v3, v4, s0
	s_delay_alu instid0(VALU_DEP_3) | instskip(NEXT) | instid1(VALU_DEP_1)
	v_cmp_lt_f32_e64 s0, 0, v41
	v_cndmask_b32_e64 v7, v3, v7, s0
	v_add_co_u32 v3, s0, s11, v10
	s_delay_alu instid0(VALU_DEP_1) | instskip(NEXT) | instid1(VALU_DEP_3)
	v_add_co_ci_u32_e64 v4, s0, 0, v11, s0
	v_mul_f32_e32 v13, 0x37800000, v7
	v_cmp_class_f32_e64 s0, v5, 0x260
	s_delay_alu instid0(VALU_DEP_2) | instskip(NEXT) | instid1(VALU_DEP_4)
	v_cndmask_b32_e32 v7, v7, v13, vcc_lo
	v_cmp_gt_i64_e32 vcc_lo, s[4:5], v[3:4]
	v_mul_f32_e32 v4, 0.15915494, v6
	s_delay_alu instid0(VALU_DEP_3)
	v_cndmask_b32_e64 v3, v7, v5, s0
	s_and_saveexec_b32 s0, vcc_lo
	s_cbranch_execz .LBB14_24
; %bb.23:                               ;   in Loop: Header=BB14_8 Depth=1
	s_delay_alu instid0(VALU_DEP_2) | instskip(SKIP_2) | instid1(VALU_DEP_1)
	v_sin_f32_e32 v5, v4
	s_waitcnt_depctr 0xfff
	v_mul_f32_e32 v5, v5, v3
	v_fma_f32 v5, s10, v5, s9
	s_delay_alu instid0(VALU_DEP_1) | instskip(SKIP_1) | instid1(VALU_DEP_2)
	v_mul_f32_e32 v6, 0x3fb8aa3b, v5
	v_cmp_ngt_f32_e32 vcc_lo, 0xc2ce8ed0, v5
	v_fma_f32 v7, 0x3fb8aa3b, v5, -v6
	v_rndne_f32_e32 v13, v6
	s_delay_alu instid0(VALU_DEP_2) | instskip(NEXT) | instid1(VALU_DEP_2)
	v_fmac_f32_e32 v7, 0x32a5705f, v5
	v_sub_f32_e32 v6, v6, v13
	s_delay_alu instid0(VALU_DEP_1) | instskip(SKIP_1) | instid1(VALU_DEP_2)
	v_add_f32_e32 v6, v6, v7
	v_cvt_i32_f32_e32 v7, v13
	v_exp_f32_e32 v6, v6
	s_waitcnt_depctr 0xfff
	v_ldexp_f32 v6, v6, v7
	s_delay_alu instid0(VALU_DEP_1) | instskip(SKIP_1) | instid1(VALU_DEP_2)
	v_cndmask_b32_e32 v6, 0, v6, vcc_lo
	v_cmp_nlt_f32_e32 vcc_lo, 0x42b17218, v5
	v_cndmask_b32_e32 v7, 0x7f800000, v6, vcc_lo
	v_add_nc_u32_e32 v6, s15, v38
	s_delay_alu instid0(VALU_DEP_2) | instskip(NEXT) | instid1(VALU_DEP_2)
	v_bfe_u32 v5, v7, 16, 1
	v_ashrrev_i32_e32 v13, 31, v6
	s_delay_alu instid0(VALU_DEP_2) | instskip(NEXT) | instid1(VALU_DEP_1)
	v_add3_u32 v5, v7, v5, 0x7fff
	v_lshrrev_b32_e32 v41, 16, v5
	v_add_co_u32 v5, vcc_lo, s6, v6
	s_delay_alu instid0(VALU_DEP_4) | instskip(SKIP_1) | instid1(VALU_DEP_4)
	v_add_co_ci_u32_e32 v6, vcc_lo, s7, v13, vcc_lo
	v_cmp_o_f32_e32 vcc_lo, v7, v7
	v_cndmask_b32_e32 v7, 0x7fc0, v41, vcc_lo
	global_store_b16 v[5:6], v7, off
.LBB14_24:                              ;   in Loop: Header=BB14_8 Depth=1
	s_or_b32 exec_lo, exec_lo, s0
	v_add_co_u32 v5, vcc_lo, s8, v10
	v_add_co_ci_u32_e32 v6, vcc_lo, 0, v11, vcc_lo
	s_mov_b32 s0, exec_lo
	s_delay_alu instid0(VALU_DEP_1)
	v_cmpx_gt_i64_e64 s[4:5], v[5:6]
	s_cbranch_execz .LBB14_7
; %bb.25:                               ;   in Loop: Header=BB14_8 Depth=1
	v_cos_f32_e32 v4, v4
	s_waitcnt_depctr 0xfff
	v_mul_f32_e32 v3, v4, v3
	s_delay_alu instid0(VALU_DEP_1) | instskip(NEXT) | instid1(VALU_DEP_1)
	v_fma_f32 v3, s10, v3, s9
	v_mul_f32_e32 v4, 0x3fb8aa3b, v3
	v_cmp_ngt_f32_e32 vcc_lo, 0xc2ce8ed0, v3
	s_delay_alu instid0(VALU_DEP_2) | instskip(SKIP_1) | instid1(VALU_DEP_1)
	v_fma_f32 v5, 0x3fb8aa3b, v3, -v4
	v_rndne_f32_e32 v6, v4
	v_dual_fmac_f32 v5, 0x32a5705f, v3 :: v_dual_sub_f32 v4, v4, v6
	s_delay_alu instid0(VALU_DEP_1) | instskip(SKIP_1) | instid1(VALU_DEP_2)
	v_add_f32_e32 v4, v4, v5
	v_cvt_i32_f32_e32 v5, v6
	v_exp_f32_e32 v4, v4
	s_waitcnt_depctr 0xfff
	v_ldexp_f32 v4, v4, v5
	s_delay_alu instid0(VALU_DEP_1) | instskip(SKIP_1) | instid1(VALU_DEP_2)
	v_cndmask_b32_e32 v4, 0, v4, vcc_lo
	v_cmp_nlt_f32_e32 vcc_lo, 0x42b17218, v3
	v_cndmask_b32_e32 v5, 0x7f800000, v4, vcc_lo
	v_add_nc_u32_e32 v4, s15, v37
	s_delay_alu instid0(VALU_DEP_2) | instskip(NEXT) | instid1(VALU_DEP_2)
	v_bfe_u32 v3, v5, 16, 1
	v_ashrrev_i32_e32 v6, 31, v4
	s_delay_alu instid0(VALU_DEP_2) | instskip(NEXT) | instid1(VALU_DEP_1)
	v_add3_u32 v3, v5, v3, 0x7fff
	v_lshrrev_b32_e32 v7, 16, v3
	v_add_co_u32 v3, vcc_lo, s6, v4
	s_delay_alu instid0(VALU_DEP_4) | instskip(SKIP_1) | instid1(VALU_DEP_4)
	v_add_co_ci_u32_e32 v4, vcc_lo, s7, v6, vcc_lo
	v_cmp_o_f32_e32 vcc_lo, v5, v5
	v_cndmask_b32_e32 v5, 0x7fc0, v7, vcc_lo
	global_store_b16 v[3:4], v5, off
	s_branch .LBB14_7
.LBB14_26:
	s_endpgm
.LBB14_27:
                                        ; implicit-def: $sgpr2_sgpr3
	s_branch .LBB14_4
	.section	.rodata,"a",@progbits
	.p2align	6, 0x0
	.amdhsa_kernel _ZN2at6native12_GLOBAL__N_143distribution_elementwise_grid_stride_kernelIfLi4EZNS0_9templates4cuda20normal_and_transformIN3c108BFloat16EfPNS_17CUDAGeneratorImplEZZZNS4_17log_normal_kernelIS9_EEvRNS_18TensorIteratorBaseEddT_ENKUlvE_clEvENKUlvE2_clEvEUlfE_EEvSC_T1_T2_EUlP25hiprandStatePhilox4_32_10E0_ZNS1_27distribution_nullary_kernelIS7_f15HIP_vector_typeIfLj4EES9_SL_SG_EEvSC_SI_RKT3_T4_EUlifE_EEvlNS_15PhiloxCudaStateESH_SI_
		.amdhsa_group_segment_fixed_size 0
		.amdhsa_private_segment_fixed_size 0
		.amdhsa_kernarg_size 328
		.amdhsa_user_sgpr_count 15
		.amdhsa_user_sgpr_dispatch_ptr 0
		.amdhsa_user_sgpr_queue_ptr 0
		.amdhsa_user_sgpr_kernarg_segment_ptr 1
		.amdhsa_user_sgpr_dispatch_id 0
		.amdhsa_user_sgpr_private_segment_size 0
		.amdhsa_wavefront_size32 1
		.amdhsa_uses_dynamic_stack 0
		.amdhsa_enable_private_segment 0
		.amdhsa_system_sgpr_workgroup_id_x 1
		.amdhsa_system_sgpr_workgroup_id_y 0
		.amdhsa_system_sgpr_workgroup_id_z 0
		.amdhsa_system_sgpr_workgroup_info 0
		.amdhsa_system_vgpr_workitem_id 0
		.amdhsa_next_free_vgpr 46
		.amdhsa_next_free_sgpr 23
		.amdhsa_reserve_vcc 1
		.amdhsa_float_round_mode_32 0
		.amdhsa_float_round_mode_16_64 0
		.amdhsa_float_denorm_mode_32 3
		.amdhsa_float_denorm_mode_16_64 3
		.amdhsa_dx10_clamp 1
		.amdhsa_ieee_mode 1
		.amdhsa_fp16_overflow 0
		.amdhsa_workgroup_processor_mode 1
		.amdhsa_memory_ordered 1
		.amdhsa_forward_progress 0
		.amdhsa_shared_vgpr_count 0
		.amdhsa_exception_fp_ieee_invalid_op 0
		.amdhsa_exception_fp_denorm_src 0
		.amdhsa_exception_fp_ieee_div_zero 0
		.amdhsa_exception_fp_ieee_overflow 0
		.amdhsa_exception_fp_ieee_underflow 0
		.amdhsa_exception_fp_ieee_inexact 0
		.amdhsa_exception_int_div_zero 0
	.end_amdhsa_kernel
	.section	.text._ZN2at6native12_GLOBAL__N_143distribution_elementwise_grid_stride_kernelIfLi4EZNS0_9templates4cuda20normal_and_transformIN3c108BFloat16EfPNS_17CUDAGeneratorImplEZZZNS4_17log_normal_kernelIS9_EEvRNS_18TensorIteratorBaseEddT_ENKUlvE_clEvENKUlvE2_clEvEUlfE_EEvSC_T1_T2_EUlP25hiprandStatePhilox4_32_10E0_ZNS1_27distribution_nullary_kernelIS7_f15HIP_vector_typeIfLj4EES9_SL_SG_EEvSC_SI_RKT3_T4_EUlifE_EEvlNS_15PhiloxCudaStateESH_SI_,"axG",@progbits,_ZN2at6native12_GLOBAL__N_143distribution_elementwise_grid_stride_kernelIfLi4EZNS0_9templates4cuda20normal_and_transformIN3c108BFloat16EfPNS_17CUDAGeneratorImplEZZZNS4_17log_normal_kernelIS9_EEvRNS_18TensorIteratorBaseEddT_ENKUlvE_clEvENKUlvE2_clEvEUlfE_EEvSC_T1_T2_EUlP25hiprandStatePhilox4_32_10E0_ZNS1_27distribution_nullary_kernelIS7_f15HIP_vector_typeIfLj4EES9_SL_SG_EEvSC_SI_RKT3_T4_EUlifE_EEvlNS_15PhiloxCudaStateESH_SI_,comdat
.Lfunc_end14:
	.size	_ZN2at6native12_GLOBAL__N_143distribution_elementwise_grid_stride_kernelIfLi4EZNS0_9templates4cuda20normal_and_transformIN3c108BFloat16EfPNS_17CUDAGeneratorImplEZZZNS4_17log_normal_kernelIS9_EEvRNS_18TensorIteratorBaseEddT_ENKUlvE_clEvENKUlvE2_clEvEUlfE_EEvSC_T1_T2_EUlP25hiprandStatePhilox4_32_10E0_ZNS1_27distribution_nullary_kernelIS7_f15HIP_vector_typeIfLj4EES9_SL_SG_EEvSC_SI_RKT3_T4_EUlifE_EEvlNS_15PhiloxCudaStateESH_SI_, .Lfunc_end14-_ZN2at6native12_GLOBAL__N_143distribution_elementwise_grid_stride_kernelIfLi4EZNS0_9templates4cuda20normal_and_transformIN3c108BFloat16EfPNS_17CUDAGeneratorImplEZZZNS4_17log_normal_kernelIS9_EEvRNS_18TensorIteratorBaseEddT_ENKUlvE_clEvENKUlvE2_clEvEUlfE_EEvSC_T1_T2_EUlP25hiprandStatePhilox4_32_10E0_ZNS1_27distribution_nullary_kernelIS7_f15HIP_vector_typeIfLj4EES9_SL_SG_EEvSC_SI_RKT3_T4_EUlifE_EEvlNS_15PhiloxCudaStateESH_SI_
                                        ; -- End function
	.section	.AMDGPU.csdata,"",@progbits
; Kernel info:
; codeLenInByte = 4032
; NumSgprs: 25
; NumVgprs: 46
; ScratchSize: 0
; MemoryBound: 0
; FloatMode: 240
; IeeeMode: 1
; LDSByteSize: 0 bytes/workgroup (compile time only)
; SGPRBlocks: 3
; VGPRBlocks: 5
; NumSGPRsForWavesPerEU: 25
; NumVGPRsForWavesPerEU: 46
; Occupancy: 16
; WaveLimiterHint : 0
; COMPUTE_PGM_RSRC2:SCRATCH_EN: 0
; COMPUTE_PGM_RSRC2:USER_SGPR: 15
; COMPUTE_PGM_RSRC2:TRAP_HANDLER: 0
; COMPUTE_PGM_RSRC2:TGID_X_EN: 1
; COMPUTE_PGM_RSRC2:TGID_Y_EN: 0
; COMPUTE_PGM_RSRC2:TGID_Z_EN: 0
; COMPUTE_PGM_RSRC2:TIDIG_COMP_CNT: 0
	.section	.text._ZN2at6native12_GLOBAL__N_143distribution_elementwise_grid_stride_kernelIfLi4EZNS0_9templates4cuda20normal_and_transformIN3c108BFloat16EfPNS_17CUDAGeneratorImplEZZZNS4_17log_normal_kernelIS9_EEvRNS_18TensorIteratorBaseEddT_ENKUlvE_clEvENKUlvE2_clEvEUlfE_EEvSC_T1_T2_EUlP25hiprandStatePhilox4_32_10E0_ZNS1_27distribution_nullary_kernelIS7_f15HIP_vector_typeIfLj4EES9_SL_SG_EEvSC_SI_RKT3_T4_EUlifE0_EEvlNS_15PhiloxCudaStateESH_SI_,"axG",@progbits,_ZN2at6native12_GLOBAL__N_143distribution_elementwise_grid_stride_kernelIfLi4EZNS0_9templates4cuda20normal_and_transformIN3c108BFloat16EfPNS_17CUDAGeneratorImplEZZZNS4_17log_normal_kernelIS9_EEvRNS_18TensorIteratorBaseEddT_ENKUlvE_clEvENKUlvE2_clEvEUlfE_EEvSC_T1_T2_EUlP25hiprandStatePhilox4_32_10E0_ZNS1_27distribution_nullary_kernelIS7_f15HIP_vector_typeIfLj4EES9_SL_SG_EEvSC_SI_RKT3_T4_EUlifE0_EEvlNS_15PhiloxCudaStateESH_SI_,comdat
	.globl	_ZN2at6native12_GLOBAL__N_143distribution_elementwise_grid_stride_kernelIfLi4EZNS0_9templates4cuda20normal_and_transformIN3c108BFloat16EfPNS_17CUDAGeneratorImplEZZZNS4_17log_normal_kernelIS9_EEvRNS_18TensorIteratorBaseEddT_ENKUlvE_clEvENKUlvE2_clEvEUlfE_EEvSC_T1_T2_EUlP25hiprandStatePhilox4_32_10E0_ZNS1_27distribution_nullary_kernelIS7_f15HIP_vector_typeIfLj4EES9_SL_SG_EEvSC_SI_RKT3_T4_EUlifE0_EEvlNS_15PhiloxCudaStateESH_SI_ ; -- Begin function _ZN2at6native12_GLOBAL__N_143distribution_elementwise_grid_stride_kernelIfLi4EZNS0_9templates4cuda20normal_and_transformIN3c108BFloat16EfPNS_17CUDAGeneratorImplEZZZNS4_17log_normal_kernelIS9_EEvRNS_18TensorIteratorBaseEddT_ENKUlvE_clEvENKUlvE2_clEvEUlfE_EEvSC_T1_T2_EUlP25hiprandStatePhilox4_32_10E0_ZNS1_27distribution_nullary_kernelIS7_f15HIP_vector_typeIfLj4EES9_SL_SG_EEvSC_SI_RKT3_T4_EUlifE0_EEvlNS_15PhiloxCudaStateESH_SI_
	.p2align	8
	.type	_ZN2at6native12_GLOBAL__N_143distribution_elementwise_grid_stride_kernelIfLi4EZNS0_9templates4cuda20normal_and_transformIN3c108BFloat16EfPNS_17CUDAGeneratorImplEZZZNS4_17log_normal_kernelIS9_EEvRNS_18TensorIteratorBaseEddT_ENKUlvE_clEvENKUlvE2_clEvEUlfE_EEvSC_T1_T2_EUlP25hiprandStatePhilox4_32_10E0_ZNS1_27distribution_nullary_kernelIS7_f15HIP_vector_typeIfLj4EES9_SL_SG_EEvSC_SI_RKT3_T4_EUlifE0_EEvlNS_15PhiloxCudaStateESH_SI_,@function
_ZN2at6native12_GLOBAL__N_143distribution_elementwise_grid_stride_kernelIfLi4EZNS0_9templates4cuda20normal_and_transformIN3c108BFloat16EfPNS_17CUDAGeneratorImplEZZZNS4_17log_normal_kernelIS9_EEvRNS_18TensorIteratorBaseEddT_ENKUlvE_clEvENKUlvE2_clEvEUlfE_EEvSC_T1_T2_EUlP25hiprandStatePhilox4_32_10E0_ZNS1_27distribution_nullary_kernelIS7_f15HIP_vector_typeIfLj4EES9_SL_SG_EEvSC_SI_RKT3_T4_EUlifE0_EEvlNS_15PhiloxCudaStateESH_SI_: ; @_ZN2at6native12_GLOBAL__N_143distribution_elementwise_grid_stride_kernelIfLi4EZNS0_9templates4cuda20normal_and_transformIN3c108BFloat16EfPNS_17CUDAGeneratorImplEZZZNS4_17log_normal_kernelIS9_EEvRNS_18TensorIteratorBaseEddT_ENKUlvE_clEvENKUlvE2_clEvEUlfE_EEvSC_T1_T2_EUlP25hiprandStatePhilox4_32_10E0_ZNS1_27distribution_nullary_kernelIS7_f15HIP_vector_typeIfLj4EES9_SL_SG_EEvSC_SI_RKT3_T4_EUlifE0_EEvlNS_15PhiloxCudaStateESH_SI_
; %bb.0:
	s_clause 0x2
	s_load_b64 s[4:5], s[0:1], 0x10
	s_load_b128 s[16:19], s[0:1], 0x0
	s_load_b32 s2, s[0:1], 0x20
	s_waitcnt lgkmcnt(0)
	v_dual_mov_b32 v2, s4 :: v_dual_mov_b32 v3, s5
	v_dual_mov_b32 v8, s18 :: v_dual_mov_b32 v9, s19
	s_bitcmp0_b32 s2, 0
	s_mov_b32 s2, 0
	s_cbranch_scc1 .LBB15_2
; %bb.1:
	v_dual_mov_b32 v1, s4 :: v_dual_mov_b32 v2, s5
	v_dual_mov_b32 v4, s18 :: v_dual_mov_b32 v5, s19
	s_load_b64 s[4:5], s[0:1], 0x18
	flat_load_b64 v[2:3], v[1:2]
	flat_load_b64 v[8:9], v[4:5]
	s_waitcnt vmcnt(1) lgkmcnt(0)
	v_add_co_u32 v2, vcc_lo, v2, s4
	v_add_co_ci_u32_e32 v3, vcc_lo, s5, v3, vcc_lo
.LBB15_2:
	s_clause 0x1
	s_load_b32 s3, s[0:1], 0x154
	s_load_b32 s4, s[0:1], 0x148
	s_waitcnt lgkmcnt(0)
	s_and_b32 s5, s3, 0xffff
	s_add_u32 s6, s16, -1
	s_mul_i32 s26, s4, s5
	s_addc_u32 s3, s17, -1
	s_lshl_b32 s27, s26, 2
	s_cmp_lg_u64 s[2:3], 0
	s_cbranch_scc0 .LBB15_79
; %bb.3:
	v_cvt_f32_ubyte0_e32 v1, 0
	v_cvt_f32_u32_e32 v4, s27
	s_sub_u32 s8, 0, s27
	s_subb_u32 s9, 0, 0
	s_delay_alu instid0(VALU_DEP_1) | instskip(NEXT) | instid1(VALU_DEP_1)
	v_fmamk_f32 v1, v1, 0x4f800000, v4
	v_rcp_f32_e32 v1, v1
	s_waitcnt_depctr 0xfff
	v_mul_f32_e32 v1, 0x5f7ffffc, v1
	s_delay_alu instid0(VALU_DEP_1) | instskip(NEXT) | instid1(VALU_DEP_1)
	v_mul_f32_e32 v4, 0x2f800000, v1
	v_trunc_f32_e32 v4, v4
	s_delay_alu instid0(VALU_DEP_1) | instskip(SKIP_1) | instid1(VALU_DEP_2)
	v_fmamk_f32 v1, v4, 0xcf800000, v1
	v_cvt_u32_f32_e32 v4, v4
	v_cvt_u32_f32_e32 v1, v1
	s_delay_alu instid0(VALU_DEP_2) | instskip(NEXT) | instid1(VALU_DEP_2)
	v_readfirstlane_b32 s2, v4
	v_readfirstlane_b32 s7, v1
	s_delay_alu instid0(VALU_DEP_2) | instskip(NEXT) | instid1(VALU_DEP_1)
	s_mul_i32 s10, s8, s2
	s_mul_hi_u32 s12, s8, s7
	s_mul_i32 s11, s9, s7
	s_add_i32 s10, s12, s10
	s_mul_i32 s13, s8, s7
	s_add_i32 s10, s10, s11
	s_mul_hi_u32 s12, s7, s13
	s_mul_hi_u32 s14, s2, s13
	s_mul_i32 s11, s2, s13
	s_mul_hi_u32 s13, s7, s10
	s_mul_i32 s7, s7, s10
	s_mul_hi_u32 s18, s2, s10
	s_add_u32 s7, s12, s7
	s_addc_u32 s12, 0, s13
	s_add_u32 s7, s7, s11
	s_mul_i32 s10, s2, s10
	s_addc_u32 s7, s12, s14
	s_addc_u32 s11, s18, 0
	s_add_u32 s7, s7, s10
	s_addc_u32 s10, 0, s11
	v_add_co_u32 v1, s7, v1, s7
	s_delay_alu instid0(VALU_DEP_1) | instskip(SKIP_1) | instid1(VALU_DEP_1)
	s_cmp_lg_u32 s7, 0
	s_addc_u32 s2, s2, s10
	v_readfirstlane_b32 s7, v1
	s_mul_i32 s10, s8, s2
	s_delay_alu instid0(VALU_DEP_1)
	s_mul_hi_u32 s11, s8, s7
	s_mul_i32 s9, s9, s7
	s_add_i32 s10, s11, s10
	s_mul_i32 s8, s8, s7
	s_add_i32 s10, s10, s9
	s_mul_hi_u32 s11, s2, s8
	s_mul_i32 s12, s2, s8
	s_mul_hi_u32 s8, s7, s8
	s_mul_hi_u32 s13, s7, s10
	s_mul_i32 s7, s7, s10
	s_mul_hi_u32 s9, s2, s10
	s_add_u32 s7, s8, s7
	s_addc_u32 s8, 0, s13
	s_add_u32 s7, s7, s12
	s_mul_i32 s10, s2, s10
	s_addc_u32 s7, s8, s11
	s_addc_u32 s8, s9, 0
	s_add_u32 s7, s7, s10
	s_addc_u32 s8, 0, s8
	v_add_co_u32 v1, s7, v1, s7
	s_delay_alu instid0(VALU_DEP_1) | instskip(SKIP_2) | instid1(VALU_DEP_1)
	s_cmp_lg_u32 s7, 0
	s_addc_u32 s7, s2, s8
	s_ashr_i32 s8, s3, 31
	v_readfirstlane_b32 s10, v1
	s_add_u32 s2, s6, s8
	s_mov_b32 s9, s8
	s_addc_u32 s3, s3, s8
	s_delay_alu instid0(SALU_CYCLE_1) | instskip(NEXT) | instid1(SALU_CYCLE_1)
	s_xor_b64 s[2:3], s[2:3], s[8:9]
	s_mul_i32 s12, s2, s7
	s_mul_hi_u32 s13, s2, s10
	s_mul_hi_u32 s11, s2, s7
	;; [unrolled: 1-line block ×3, first 2 shown]
	s_mul_i32 s10, s3, s10
	s_add_u32 s12, s13, s12
	s_addc_u32 s11, 0, s11
	s_mul_hi_u32 s14, s3, s7
	s_add_u32 s10, s12, s10
	s_mul_i32 s7, s3, s7
	s_addc_u32 s10, s11, s18
	s_addc_u32 s11, s14, 0
	s_add_u32 s7, s10, s7
	s_addc_u32 s10, 0, s11
	s_mul_i32 s12, s27, s7
	s_add_u32 s11, s7, 1
	v_sub_co_u32 v1, s2, s2, s12
	s_mul_hi_u32 s12, s27, s7
	s_addc_u32 s13, s10, 0
	s_mul_i32 s14, s27, s10
	s_delay_alu instid0(VALU_DEP_1)
	v_sub_co_u32 v4, s18, v1, s27
	s_add_u32 s19, s7, 2
	s_addc_u32 s20, s10, 0
	s_add_i32 s12, s12, s14
	s_cmp_lg_u32 s2, 0
	v_readfirstlane_b32 s2, v4
	s_subb_u32 s3, s3, s12
	s_cmp_lg_u32 s18, 0
	s_subb_u32 s12, s3, 0
	s_delay_alu instid0(VALU_DEP_1) | instskip(SKIP_4) | instid1(SALU_CYCLE_1)
	s_cmp_ge_u32 s2, s27
	s_cselect_b32 s2, -1, 0
	s_cmp_eq_u32 s12, 0
	v_readfirstlane_b32 s12, v1
	s_cselect_b32 s2, s2, -1
	s_cmp_lg_u32 s2, 0
	s_cselect_b32 s2, s19, s11
	s_cselect_b32 s11, s20, s13
	s_cmp_ge_u32 s12, s27
	s_cselect_b32 s12, -1, 0
	s_cmp_eq_u32 s3, 0
	s_cselect_b32 s3, s12, -1
	s_delay_alu instid0(SALU_CYCLE_1) | instskip(SKIP_2) | instid1(SALU_CYCLE_1)
	s_cmp_lg_u32 s3, 0
	s_cselect_b32 s3, s11, s10
	s_cselect_b32 s2, s2, s7
	s_xor_b64 s[2:3], s[2:3], s[8:9]
	s_delay_alu instid0(SALU_CYCLE_1)
	s_sub_u32 s2, s2, s8
	s_subb_u32 s3, s3, s8
	s_cbranch_execnz .LBB15_5
.LBB15_4:
	v_cvt_f32_u32_e32 v1, s27
	s_sub_i32 s3, 0, s27
	s_delay_alu instid0(VALU_DEP_1) | instskip(SKIP_2) | instid1(VALU_DEP_1)
	v_rcp_iflag_f32_e32 v1, v1
	s_waitcnt_depctr 0xfff
	v_mul_f32_e32 v1, 0x4f7ffffe, v1
	v_cvt_u32_f32_e32 v1, v1
	s_delay_alu instid0(VALU_DEP_1) | instskip(NEXT) | instid1(VALU_DEP_1)
	v_readfirstlane_b32 s2, v1
	s_mul_i32 s3, s3, s2
	s_delay_alu instid0(SALU_CYCLE_1) | instskip(NEXT) | instid1(SALU_CYCLE_1)
	s_mul_hi_u32 s3, s2, s3
	s_add_i32 s2, s2, s3
	s_delay_alu instid0(SALU_CYCLE_1) | instskip(NEXT) | instid1(SALU_CYCLE_1)
	s_mul_hi_u32 s2, s6, s2
	s_mul_i32 s3, s2, s27
	s_delay_alu instid0(SALU_CYCLE_1)
	s_sub_i32 s3, s6, s3
	s_add_i32 s6, s2, 1
	s_sub_i32 s7, s3, s27
	s_cmp_ge_u32 s3, s27
	s_cselect_b32 s2, s6, s2
	s_cselect_b32 s3, s7, s3
	s_add_i32 s6, s2, 1
	s_cmp_ge_u32 s3, s27
	s_mov_b32 s3, 0
	s_cselect_b32 s2, s6, s2
.LBB15_5:
	v_mov_b32_e32 v1, 0
	s_add_u32 s2, s2, 1
	s_addc_u32 s3, s3, 0
	s_mul_hi_u32 s6, s26, s2
	s_mul_i32 s3, s26, s3
	v_mad_u64_u32 v[10:11], null, s5, s15, v[0:1]
	s_mul_hi_u32 s4, s4, s5
	s_add_i32 s3, s6, s3
	s_mul_i32 s4, s4, s2
	s_mul_i32 s2, s26, s2
	s_add_i32 s3, s3, s4
	s_mov_b32 s4, exec_lo
	s_lshl_b64 s[2:3], s[2:3], 2
	s_delay_alu instid0(SALU_CYCLE_1)
	v_cmpx_gt_i64_e64 s[2:3], v[10:11]
	s_cbranch_execz .LBB15_78
; %bb.6:
	v_alignbit_b32 v14, v3, v2, 2
	v_mad_u64_u32 v[4:5], null, 0xcd9e8d57, v10, 0
	v_lshrrev_b32_e32 v15, 2, v3
	s_waitcnt vmcnt(0)
	v_dual_mov_b32 v35, v9 :: v_dual_add_nc_u32 v26, 0x96a522ad, v9
	v_mad_u64_u32 v[0:1], null, 0xd2511f53, v14, 0
	v_add_co_u32 v17, null, 0x9e3779b9, v8
	v_xor3_b32 v3, v8, v5, v15
	s_delay_alu instid0(VALU_DEP_4) | instskip(SKIP_2) | instid1(VALU_DEP_4)
	v_add_co_u32 v16, null, 0xbb67ae85, v35
	v_add_co_u32 v18, null, 0x3c6ef372, v8
	v_xor_b32_e32 v1, v1, v9
	v_mad_u64_u32 v[5:6], null, 0xd2511f53, v3, 0
	v_add_co_u32 v19, null, 0x76cf5d0a, v35
	s_delay_alu instid0(VALU_DEP_3) | instskip(SKIP_2) | instid1(VALU_DEP_3)
	v_xor_b32_e32 v1, v1, v11
	v_add_co_u32 v20, null, 0x32370b8f, v35
	v_add_co_u32 v21, null, 0xdaa66d2b, v8
	v_mad_u64_u32 v[12:13], null, 0xcd9e8d57, v1, 0
	v_xor3_b32 v3, v16, v6, v0
	v_add_co_u32 v22, null, 0x78dde6e4, v8
	v_add_co_u32 v24, null, 0xed9eba14, v35
	s_delay_alu instid0(VALU_DEP_3) | instskip(SKIP_4) | instid1(VALU_DEP_4)
	v_mad_u64_u32 v[0:1], null, 0xcd9e8d57, v3, 0
	v_xor3_b32 v6, v17, v13, v4
	v_and_b32_e32 v23, 3, v2
	v_add_co_u32 v27, null, 0xa9066899, v35
	v_add_co_u32 v28, null, 0x1715609d, v8
	v_mad_u64_u32 v[3:4], null, 0xd2511f53, v6, 0
	v_xor3_b32 v1, v18, v1, v12
	v_add_co_u32 v30, null, 0xb54cda56, v8
	v_add_co_u32 v32, null, 0x646e171e, v35
	s_load_b256 s[4:11], s[0:1], 0x30
	s_delay_alu instid0(VALU_DEP_4) | instskip(SKIP_2) | instid1(VALU_DEP_3)
	v_xor3_b32 v12, v19, v4, v5
	v_mad_u64_u32 v[4:5], null, 0xd2511f53, v1, 0
	v_add_co_u32 v29, null, 0x5384540f, v8
	v_mad_u64_u32 v[6:7], null, 0xcd9e8d57, v12, 0
	v_add_co_u32 v34, null, 0x1fd5c5a3, v35
	s_delay_alu instid0(VALU_DEP_4) | instskip(SKIP_3) | instid1(VALU_DEP_4)
	v_xor3_b32 v3, v20, v5, v3
	v_add_co_u32 v31, null, 0xf1bbcdc8, v8
	v_add_co_u32 v35, null, 0xdb3d7428, v35
	v_xor3_b32 v5, v21, v7, v0
	v_mad_u64_u32 v[0:1], null, 0xcd9e8d57, v3, 0
	s_add_u32 s18, s0, 48
	s_clause 0x1
	s_load_b64 s[20:21], s[0:1], 0xf4
	s_load_b128 s[12:15], s[0:1], 0x138
	v_mad_u64_u32 v[12:13], null, 0xd2511f53, v5, 0
	s_addc_u32 s19, s1, 0
	s_waitcnt lgkmcnt(0)
	s_add_i32 s24, s4, -1
	v_xor3_b32 v3, v22, v1, v6
	s_cmp_gt_u32 s24, 1
	v_dual_mov_b32 v36, v11 :: v_dual_add_nc_u32 v25, 0x8ff34781, v8
	s_delay_alu instid0(VALU_DEP_3) | instskip(NEXT) | instid1(VALU_DEP_3)
	v_xor3_b32 v5, v24, v13, v4
	v_mad_u64_u32 v[1:2], null, 0xd2511f53, v3, 0
	s_cselect_b32 s11, -1, 0
	s_cmp_lg_u32 s4, 0
	s_delay_alu instid0(VALU_DEP_2) | instskip(SKIP_2) | instid1(VALU_DEP_2)
	v_mad_u64_u32 v[3:4], null, 0xcd9e8d57, v5, 0
	s_cselect_b32 s29, -1, 0
	s_add_u32 s22, s0, 0xf4
	v_xor3_b32 v2, v27, v2, v12
	s_addc_u32 s23, s1, 0
	s_min_u32 s0, s24, 15
	s_cmp_gt_u32 s4, 1
	s_delay_alu instid0(VALU_DEP_2) | instskip(SKIP_3) | instid1(VALU_DEP_2)
	v_xor3_b32 v0, v28, v4, v0
	v_mad_u64_u32 v[4:5], null, 0xcd9e8d57, v2, 0
	s_cselect_b32 s4, -1, 0
	s_add_i32 s0, s0, 1
	v_mad_u64_u32 v[6:7], null, 0xd2511f53, v0, 0
	s_lshl_b32 s30, s26, 1
	s_and_b32 s31, s0, 3
	s_delay_alu instid0(VALU_DEP_2) | instskip(SKIP_3) | instid1(VALU_DEP_3)
	v_xor3_b32 v2, v30, v5, v3
	s_cmp_lg_u32 s24, 2
	v_mov_b32_e32 v33, v10
	s_cselect_b32 s33, -1, 0
	v_xor3_b32 v5, v32, v7, v1
	v_mad_u64_u32 v[0:1], null, 0xd2511f53, v2, 0
	s_and_b32 s34, s0, 28
	s_cmp_lg_u32 s31, 0
	s_delay_alu instid0(VALU_DEP_2) | instskip(SKIP_2) | instid1(VALU_DEP_2)
	v_mad_u64_u32 v[2:3], null, 0xcd9e8d57, v5, 0
	s_mov_b32 s28, 0
	s_mul_i32 s35, s26, 3
	v_xor3_b32 v1, v34, v1, v6
	s_cselect_b32 s36, -1, 0
	s_delay_alu instid0(VALU_DEP_2) | instskip(NEXT) | instid1(VALU_DEP_2)
	v_xor3_b32 v5, v29, v3, v4
	v_mad_u64_u32 v[3:4], null, 0xcd9e8d57, v1, 0
	s_delay_alu instid0(VALU_DEP_2) | instskip(NEXT) | instid1(VALU_DEP_2)
	v_mad_u64_u32 v[12:13], null, 0xd2511f53, v5, 0
	v_xor3_b32 v2, v31, v4, v2
	s_delay_alu instid0(VALU_DEP_2) | instskip(NEXT) | instid1(VALU_DEP_2)
	v_xor3_b32 v6, v35, v13, v0
	v_mad_u64_u32 v[0:1], null, 0xd2511f53, v2, 0
	s_delay_alu instid0(VALU_DEP_2) | instskip(NEXT) | instid1(VALU_DEP_2)
	v_mad_u64_u32 v[4:5], null, 0xcd9e8d57, v6, 0
	v_mov_b32_e32 v6, v0
	s_delay_alu instid0(VALU_DEP_2) | instskip(NEXT) | instid1(VALU_DEP_4)
	v_xor3_b32 v3, v5, v3, v25
	v_xor3_b32 v5, v1, v12, v26
	s_branch .LBB15_9
.LBB15_7:                               ;   in Loop: Header=BB15_9 Depth=1
	v_mul_f32_e32 v3, 0.15915494, v5
	s_delay_alu instid0(VALU_DEP_1) | instskip(SKIP_2) | instid1(VALU_DEP_1)
	v_cos_f32_e32 v3, v3
	s_waitcnt_depctr 0xfff
	v_mul_f32_e32 v3, v3, v6
	v_fma_f32 v3, v3, s15, s14
	s_delay_alu instid0(VALU_DEP_1) | instskip(SKIP_1) | instid1(VALU_DEP_2)
	v_mul_f32_e32 v5, 0x3fb8aa3b, v3
	v_cmp_ngt_f32_e32 vcc_lo, 0xc2ce8ed0, v3
	v_fma_f32 v6, 0x3fb8aa3b, v3, -v5
	v_rndne_f32_e32 v7, v5
	s_delay_alu instid0(VALU_DEP_2) | instskip(NEXT) | instid1(VALU_DEP_2)
	v_fmac_f32_e32 v6, 0x32a5705f, v3
	v_sub_f32_e32 v5, v5, v7
	s_delay_alu instid0(VALU_DEP_1) | instskip(SKIP_1) | instid1(VALU_DEP_2)
	v_add_f32_e32 v5, v5, v6
	v_cvt_i32_f32_e32 v6, v7
	v_exp_f32_e32 v5, v5
	s_waitcnt_depctr 0xfff
	v_ldexp_f32 v5, v5, v6
	s_delay_alu instid0(VALU_DEP_1) | instskip(SKIP_1) | instid1(VALU_DEP_2)
	v_cndmask_b32_e32 v5, 0, v5, vcc_lo
	v_cmp_nlt_f32_e32 vcc_lo, 0x42b17218, v3
	v_cndmask_b32_e32 v3, 0x7f800000, v5, vcc_lo
	s_delay_alu instid0(VALU_DEP_1) | instskip(SKIP_1) | instid1(VALU_DEP_2)
	v_bfe_u32 v5, v3, 16, 1
	v_cmp_o_f32_e32 vcc_lo, v3, v3
	v_add3_u32 v5, v3, v5, 0x7fff
	s_delay_alu instid0(VALU_DEP_1) | instskip(NEXT) | instid1(VALU_DEP_1)
	v_lshrrev_b32_e32 v5, 16, v5
	v_cndmask_b32_e32 v3, 0x7fc0, v5, vcc_lo
	global_store_b16 v4, v3, s[12:13]
.LBB15_8:                               ;   in Loop: Header=BB15_9 Depth=1
	s_or_b32 exec_lo, exec_lo, s37
	v_add_co_u32 v10, vcc_lo, v10, s27
	v_add_co_ci_u32_e32 v11, vcc_lo, 0, v11, vcc_lo
	v_mov_b32_e32 v3, v12
	s_waitcnt_vscnt null, 0x0
	s_barrier
	s_delay_alu instid0(VALU_DEP_2)
	v_cmp_le_i64_e32 vcc_lo, s[2:3], v[10:11]
	buffer_gl0_inv
	v_mov_b32_e32 v6, v3
	v_dual_mov_b32 v5, v2 :: v_dual_mov_b32 v4, v1
	v_mov_b32_e32 v3, v0
	s_or_b32 s28, vcc_lo, s28
	s_delay_alu instid0(SALU_CYCLE_1)
	s_and_not1_b32 exec_lo, exec_lo, s28
	s_cbranch_execz .LBB15_78
.LBB15_9:                               ; =>This Loop Header: Depth=1
                                        ;     Child Loop BB15_24 Depth 2
                                        ;     Child Loop BB15_29 Depth 2
	;; [unrolled: 1-line block ×8, first 2 shown]
	v_add_co_u32 v14, vcc_lo, v14, 1
	s_delay_alu instid0(VALU_DEP_1) | instskip(SKIP_2) | instid1(VALU_DEP_1)
	v_cndmask_b32_e64 v0, 0, 1, vcc_lo
	v_add_co_ci_u32_e32 v15, vcc_lo, 0, v15, vcc_lo
	s_mov_b32 s0, exec_lo
	v_cmp_eq_u32_e32 vcc_lo, 0, v15
	s_delay_alu instid0(VALU_DEP_3) | instskip(NEXT) | instid1(VALU_DEP_1)
	v_cndmask_b32_e32 v0, 0, v0, vcc_lo
	v_add_nc_u32_e32 v33, v0, v33
	s_delay_alu instid0(VALU_DEP_1) | instskip(SKIP_2) | instid1(VALU_DEP_2)
	v_cmp_eq_u32_e32 vcc_lo, 0, v33
	v_cndmask_b32_e32 v0, 0, v0, vcc_lo
	v_mad_u64_u32 v[12:13], null, 0xcd9e8d57, v33, 0
	v_add_nc_u32_e32 v36, v0, v36
	v_mad_u64_u32 v[0:1], null, 0xd2511f53, v14, 0
	s_delay_alu instid0(VALU_DEP_3) | instskip(NEXT) | instid1(VALU_DEP_2)
	v_xor3_b32 v7, v13, v8, v15
	v_xor_b32_e32 v1, v1, v9
	s_delay_alu instid0(VALU_DEP_1) | instskip(NEXT) | instid1(VALU_DEP_3)
	v_xor_b32_e32 v13, v36, v1
	v_mad_u64_u32 v[1:2], null, 0xd2511f53, v7, 0
	s_delay_alu instid0(VALU_DEP_2) | instskip(NEXT) | instid1(VALU_DEP_2)
	v_mad_u64_u32 v[37:38], null, 0xcd9e8d57, v13, 0
	v_xor3_b32 v0, v16, v2, v0
	s_delay_alu instid0(VALU_DEP_2) | instskip(NEXT) | instid1(VALU_DEP_2)
	v_xor3_b32 v2, v17, v38, v12
	v_mad_u64_u32 v[12:13], null, 0xcd9e8d57, v0, 0
	s_delay_alu instid0(VALU_DEP_2) | instskip(NEXT) | instid1(VALU_DEP_2)
	v_mad_u64_u32 v[38:39], null, 0xd2511f53, v2, 0
	v_xor3_b32 v2, v18, v13, v37
	s_delay_alu instid0(VALU_DEP_2) | instskip(NEXT) | instid1(VALU_DEP_2)
	v_xor3_b32 v7, v19, v39, v1
	;; [unrolled: 6-line block ×9, first 2 shown]
	v_mov_b32_e32 v2, v7
	v_cmpx_lt_i32_e32 1, v23
	s_xor_b32 s0, exec_lo, s0
	s_cbranch_execz .LBB15_15
; %bb.10:                               ;   in Loop: Header=BB15_9 Depth=1
	s_mov_b32 s1, exec_lo
	v_cmpx_lt_i32_e32 2, v23
	s_xor_b32 s1, exec_lo, s1
; %bb.11:                               ;   in Loop: Header=BB15_9 Depth=1
	v_dual_mov_b32 v4, v6 :: v_dual_mov_b32 v5, v0
	v_mov_b32_e32 v6, v1
	s_delay_alu instid0(VALU_DEP_2) | instskip(NEXT) | instid1(VALU_DEP_3)
	v_mov_b32_e32 v3, v4
	v_mov_b32_e32 v4, v5
	s_delay_alu instid0(VALU_DEP_3)
	v_mov_b32_e32 v5, v6
	v_mov_b32_e32 v6, v7
; %bb.12:                               ;   in Loop: Header=BB15_9 Depth=1
	s_and_not1_saveexec_b32 s1, s1
; %bb.13:                               ;   in Loop: Header=BB15_9 Depth=1
	s_delay_alu instid0(VALU_DEP_1)
	v_dual_mov_b32 v3, v5 :: v_dual_mov_b32 v4, v6
	v_dual_mov_b32 v5, v0 :: v_dual_mov_b32 v6, v1
; %bb.14:                               ;   in Loop: Header=BB15_9 Depth=1
	s_or_b32 exec_lo, exec_lo, s1
.LBB15_15:                              ;   in Loop: Header=BB15_9 Depth=1
	s_and_not1_saveexec_b32 s0, s0
	s_cbranch_execz .LBB15_19
; %bb.16:                               ;   in Loop: Header=BB15_9 Depth=1
	s_mov_b32 s1, exec_lo
	v_cmpx_eq_u32_e32 1, v23
; %bb.17:                               ;   in Loop: Header=BB15_9 Depth=1
	v_dual_mov_b32 v3, v4 :: v_dual_mov_b32 v4, v5
	v_dual_mov_b32 v5, v6 :: v_dual_mov_b32 v6, v0
; %bb.18:                               ;   in Loop: Header=BB15_9 Depth=1
	s_or_b32 exec_lo, exec_lo, s1
.LBB15_19:                              ;   in Loop: Header=BB15_9 Depth=1
	s_delay_alu instid0(SALU_CYCLE_1) | instskip(NEXT) | instid1(VALU_DEP_2)
	s_or_b32 exec_lo, exec_lo, s0
	v_cvt_f32_u32_e32 v3, v3
	v_cvt_f32_u32_e32 v4, v4
	s_mov_b32 s37, exec_lo
	s_delay_alu instid0(VALU_DEP_2) | instskip(NEXT) | instid1(VALU_DEP_1)
	v_fmaak_f32 v3, 0x2f800000, v3, 0x2f800000
	v_cmp_gt_f32_e32 vcc_lo, 0x800000, v3
	v_cndmask_b32_e64 v7, 1.0, 0x4f800000, vcc_lo
	s_delay_alu instid0(VALU_DEP_1) | instskip(NEXT) | instid1(VALU_DEP_1)
	v_mul_f32_e32 v3, v3, v7
	v_log_f32_e32 v3, v3
	s_waitcnt_depctr 0xfff
	v_mul_f32_e32 v7, 0x3f317217, v3
	s_delay_alu instid0(VALU_DEP_1) | instskip(NEXT) | instid1(VALU_DEP_1)
	v_fma_f32 v13, 0x3f317217, v3, -v7
	v_fmac_f32_e32 v13, 0x3377d1cf, v3
	s_delay_alu instid0(VALU_DEP_1) | instskip(SKIP_2) | instid1(VALU_DEP_3)
	v_add_f32_e32 v7, v7, v13
	v_cndmask_b32_e64 v13, 0, 0x41b17218, vcc_lo
	v_cmp_gt_f32_e64 vcc_lo, 0x7f800000, |v3|
	v_cndmask_b32_e32 v3, v3, v7, vcc_lo
	s_delay_alu instid0(VALU_DEP_1) | instskip(NEXT) | instid1(VALU_DEP_1)
	v_sub_f32_e32 v3, v3, v13
	v_mul_f32_e32 v3, -2.0, v3
	s_delay_alu instid0(VALU_DEP_1) | instskip(SKIP_1) | instid1(VALU_DEP_2)
	v_mul_f32_e32 v7, 0x4f800000, v3
	v_cmp_gt_f32_e32 vcc_lo, 0xf800000, v3
	v_cndmask_b32_e32 v3, v3, v7, vcc_lo
	s_delay_alu instid0(VALU_DEP_1) | instskip(SKIP_3) | instid1(VALU_DEP_2)
	v_sqrt_f32_e32 v7, v3
	s_waitcnt_depctr 0xfff
	v_add_nc_u32_e32 v13, -1, v7
	v_add_nc_u32_e32 v37, 1, v7
	v_fma_f32 v38, -v13, v7, v3
	s_delay_alu instid0(VALU_DEP_2) | instskip(NEXT) | instid1(VALU_DEP_2)
	v_fma_f32 v39, -v37, v7, v3
	v_cmp_ge_f32_e64 s0, 0, v38
	s_delay_alu instid0(VALU_DEP_1) | instskip(NEXT) | instid1(VALU_DEP_3)
	v_cndmask_b32_e64 v7, v7, v13, s0
	v_cmp_lt_f32_e64 s0, 0, v39
	s_delay_alu instid0(VALU_DEP_1) | instskip(SKIP_1) | instid1(VALU_DEP_2)
	v_cndmask_b32_e64 v7, v7, v37, s0
	v_cmp_class_f32_e64 s0, v3, 0x260
	v_mul_f32_e32 v13, 0x37800000, v7
	s_delay_alu instid0(VALU_DEP_1) | instskip(SKIP_1) | instid1(VALU_DEP_2)
	v_cndmask_b32_e32 v13, v7, v13, vcc_lo
	v_fmaak_f32 v7, 0x30c90fdb, v4, 0x30c90fdb
	v_cndmask_b32_e64 v13, v13, v3, s0
	v_cmpx_gt_i64_e64 s[16:17], v[10:11]
	s_cbranch_execz .LBB15_34
; %bb.20:                               ;   in Loop: Header=BB15_9 Depth=1
	s_and_not1_b32 vcc_lo, exec_lo, s11
	s_cbranch_vccnz .LBB15_26
; %bb.21:                               ;   in Loop: Header=BB15_9 Depth=1
	v_mov_b32_e32 v3, 0
	s_and_not1_b32 vcc_lo, exec_lo, s29
	s_cbranch_vccnz .LBB15_30
; %bb.22:                               ;   in Loop: Header=BB15_9 Depth=1
	s_and_not1_b32 vcc_lo, exec_lo, s33
	s_mov_b32 s0, 0
	s_cbranch_vccnz .LBB15_27
; %bb.23:                               ;   in Loop: Header=BB15_9 Depth=1
	v_dual_mov_b32 v3, 0 :: v_dual_mov_b32 v4, v10
	s_mov_b32 s38, 0
	s_mov_b64 s[0:1], s[18:19]
	s_mov_b64 s[24:25], s[22:23]
.LBB15_24:                              ;   Parent Loop BB15_9 Depth=1
                                        ; =>  This Inner Loop Header: Depth=2
	s_clause 0x1
	s_load_b256 s[40:47], s[0:1], 0x4
	s_load_b128 s[48:51], s[0:1], 0x24
	s_load_b128 s[52:55], s[24:25], 0x0
	s_add_u32 s0, s0, 48
	s_addc_u32 s1, s1, 0
	s_add_i32 s38, s38, 4
	s_add_u32 s24, s24, 16
	s_addc_u32 s25, s25, 0
	s_cmp_lg_u32 s34, s38
	s_waitcnt lgkmcnt(0)
	v_mul_hi_u32 v37, s41, v4
	s_delay_alu instid0(VALU_DEP_1) | instskip(NEXT) | instid1(VALU_DEP_1)
	v_add_nc_u32_e32 v37, v4, v37
	v_lshrrev_b32_e32 v37, s42, v37
	s_delay_alu instid0(VALU_DEP_1) | instskip(SKIP_1) | instid1(VALU_DEP_2)
	v_mul_hi_u32 v38, s44, v37
	v_mul_lo_u32 v41, v37, s40
	v_add_nc_u32_e32 v38, v37, v38
	s_delay_alu instid0(VALU_DEP_2) | instskip(NEXT) | instid1(VALU_DEP_2)
	v_sub_nc_u32_e32 v41, v4, v41
	v_lshrrev_b32_e32 v38, s45, v38
	s_delay_alu instid0(VALU_DEP_2) | instskip(NEXT) | instid1(VALU_DEP_2)
	v_mul_lo_u32 v41, v41, s52
	v_mul_hi_u32 v39, s47, v38
	v_mul_lo_u32 v42, v38, s43
	s_delay_alu instid0(VALU_DEP_2) | instskip(NEXT) | instid1(VALU_DEP_2)
	v_add_nc_u32_e32 v39, v38, v39
	v_sub_nc_u32_e32 v37, v37, v42
	s_delay_alu instid0(VALU_DEP_2) | instskip(NEXT) | instid1(VALU_DEP_2)
	v_lshrrev_b32_e32 v39, s48, v39
	v_mul_lo_u32 v37, v37, s53
	s_delay_alu instid0(VALU_DEP_2) | instskip(NEXT) | instid1(VALU_DEP_2)
	v_mul_hi_u32 v40, s50, v39
	v_add3_u32 v3, v41, v3, v37
	s_delay_alu instid0(VALU_DEP_2) | instskip(NEXT) | instid1(VALU_DEP_1)
	v_add_nc_u32_e32 v40, v39, v40
	v_lshrrev_b32_e32 v4, s51, v40
	v_mul_lo_u32 v40, v39, s46
	s_delay_alu instid0(VALU_DEP_2) | instskip(NEXT) | instid1(VALU_DEP_2)
	v_mul_lo_u32 v43, v4, s49
	v_sub_nc_u32_e32 v38, v38, v40
	s_delay_alu instid0(VALU_DEP_2) | instskip(NEXT) | instid1(VALU_DEP_2)
	v_sub_nc_u32_e32 v39, v39, v43
	v_mul_lo_u32 v38, v38, s54
	s_delay_alu instid0(VALU_DEP_2) | instskip(NEXT) | instid1(VALU_DEP_1)
	v_mul_lo_u32 v39, v39, s55
	v_add3_u32 v3, v38, v3, v39
	s_cbranch_scc1 .LBB15_24
; %bb.25:                               ;   in Loop: Header=BB15_9 Depth=1
	s_mov_b32 s0, s34
	s_and_not1_b32 vcc_lo, exec_lo, s36
	s_cbranch_vccz .LBB15_28
	s_branch .LBB15_30
.LBB15_26:                              ;   in Loop: Header=BB15_9 Depth=1
                                        ; implicit-def: $vgpr3
	s_branch .LBB15_31
.LBB15_27:                              ;   in Loop: Header=BB15_9 Depth=1
	v_mov_b32_e32 v4, v10
	s_and_not1_b32 vcc_lo, exec_lo, s36
	s_cbranch_vccnz .LBB15_30
.LBB15_28:                              ;   in Loop: Header=BB15_9 Depth=1
	s_lshl_b32 s1, s0, 2
	s_mul_i32 s24, s0, 12
	s_add_u32 s0, s22, s1
	s_addc_u32 s1, s23, 0
	s_add_u32 s24, s18, s24
	s_addc_u32 s25, s19, 0
	s_mov_b32 s38, s31
	.p2align	6
.LBB15_29:                              ;   Parent Loop BB15_9 Depth=1
                                        ; =>  This Inner Loop Header: Depth=2
	s_clause 0x1
	s_load_b64 s[40:41], s[24:25], 0x4
	s_load_b32 s39, s[24:25], 0xc
	s_add_u32 s24, s24, 12
	s_addc_u32 s25, s25, 0
	s_waitcnt lgkmcnt(0)
	v_mul_hi_u32 v37, s41, v4
	s_load_b32 s41, s[0:1], 0x0
	s_add_u32 s0, s0, 4
	s_addc_u32 s1, s1, 0
	s_add_i32 s38, s38, -1
	s_delay_alu instid0(SALU_CYCLE_1) | instskip(NEXT) | instid1(VALU_DEP_1)
	s_cmp_lg_u32 s38, 0
	v_add_nc_u32_e32 v37, v4, v37
	s_delay_alu instid0(VALU_DEP_1) | instskip(NEXT) | instid1(VALU_DEP_1)
	v_lshrrev_b32_e32 v39, s39, v37
	v_mul_lo_u32 v37, v39, s40
	s_delay_alu instid0(VALU_DEP_1) | instskip(SKIP_1) | instid1(VALU_DEP_1)
	v_sub_nc_u32_e32 v4, v4, v37
	s_waitcnt lgkmcnt(0)
	v_mad_u64_u32 v[37:38], null, v4, s41, v[3:4]
	s_delay_alu instid0(VALU_DEP_1)
	v_dual_mov_b32 v4, v39 :: v_dual_mov_b32 v3, v37
	s_cbranch_scc1 .LBB15_29
.LBB15_30:                              ;   in Loop: Header=BB15_9 Depth=1
	s_cbranch_execnz .LBB15_33
.LBB15_31:                              ;   in Loop: Header=BB15_9 Depth=1
	v_mul_hi_u32 v3, v10, s6
	s_and_not1_b32 vcc_lo, exec_lo, s4
	s_delay_alu instid0(VALU_DEP_1) | instskip(NEXT) | instid1(VALU_DEP_1)
	v_add_nc_u32_e32 v3, v3, v10
	v_lshrrev_b32_e32 v4, s7, v3
	s_delay_alu instid0(VALU_DEP_1) | instskip(NEXT) | instid1(VALU_DEP_1)
	v_mul_lo_u32 v3, v4, s5
	v_sub_nc_u32_e32 v3, v10, v3
	s_delay_alu instid0(VALU_DEP_1)
	v_mul_lo_u32 v3, v3, s20
	s_cbranch_vccnz .LBB15_33
; %bb.32:                               ;   in Loop: Header=BB15_9 Depth=1
	v_mul_hi_u32 v37, s9, v4
	s_delay_alu instid0(VALU_DEP_1) | instskip(NEXT) | instid1(VALU_DEP_1)
	v_add_nc_u32_e32 v37, v4, v37
	v_lshrrev_b32_e32 v37, s10, v37
	s_delay_alu instid0(VALU_DEP_1) | instskip(NEXT) | instid1(VALU_DEP_1)
	v_mul_lo_u32 v37, v37, s8
	v_sub_nc_u32_e32 v4, v4, v37
	s_delay_alu instid0(VALU_DEP_1) | instskip(NEXT) | instid1(VALU_DEP_1)
	v_mad_u64_u32 v[37:38], null, v4, s21, v[3:4]
	v_mov_b32_e32 v3, v37
.LBB15_33:                              ;   in Loop: Header=BB15_9 Depth=1
	v_mul_f32_e32 v4, 0.15915494, v7
	s_delay_alu instid0(VALU_DEP_1) | instskip(SKIP_2) | instid1(VALU_DEP_1)
	v_sin_f32_e32 v4, v4
	s_waitcnt_depctr 0xfff
	v_mul_f32_e32 v4, v4, v13
	v_fma_f32 v4, v4, s15, s14
	s_delay_alu instid0(VALU_DEP_1) | instskip(SKIP_1) | instid1(VALU_DEP_2)
	v_mul_f32_e32 v37, 0x3fb8aa3b, v4
	v_cmp_ngt_f32_e32 vcc_lo, 0xc2ce8ed0, v4
	v_fma_f32 v38, 0x3fb8aa3b, v4, -v37
	v_rndne_f32_e32 v39, v37
	s_delay_alu instid0(VALU_DEP_1) | instskip(NEXT) | instid1(VALU_DEP_1)
	v_dual_fmac_f32 v38, 0x32a5705f, v4 :: v_dual_sub_f32 v37, v37, v39
	v_add_f32_e32 v37, v37, v38
	v_cvt_i32_f32_e32 v38, v39
	s_delay_alu instid0(VALU_DEP_2) | instskip(SKIP_2) | instid1(VALU_DEP_1)
	v_exp_f32_e32 v37, v37
	s_waitcnt_depctr 0xfff
	v_ldexp_f32 v37, v37, v38
	v_cndmask_b32_e32 v37, 0, v37, vcc_lo
	v_cmp_nlt_f32_e32 vcc_lo, 0x42b17218, v4
	s_delay_alu instid0(VALU_DEP_2) | instskip(NEXT) | instid1(VALU_DEP_1)
	v_cndmask_b32_e32 v4, 0x7f800000, v37, vcc_lo
	v_bfe_u32 v37, v4, 16, 1
	v_cmp_o_f32_e32 vcc_lo, v4, v4
	s_delay_alu instid0(VALU_DEP_2) | instskip(NEXT) | instid1(VALU_DEP_1)
	v_add3_u32 v37, v4, v37, 0x7fff
	v_lshrrev_b32_e32 v37, 16, v37
	s_delay_alu instid0(VALU_DEP_1)
	v_cndmask_b32_e32 v4, 0x7fc0, v37, vcc_lo
	global_store_b16 v3, v4, s[12:13]
.LBB15_34:                              ;   in Loop: Header=BB15_9 Depth=1
	s_or_b32 exec_lo, exec_lo, s37
	v_add_co_u32 v3, vcc_lo, v10, s26
	v_add_co_ci_u32_e32 v4, vcc_lo, 0, v11, vcc_lo
	s_mov_b32 s37, exec_lo
	s_delay_alu instid0(VALU_DEP_1)
	v_cmpx_gt_i64_e64 s[16:17], v[3:4]
	s_cbranch_execz .LBB15_49
; %bb.35:                               ;   in Loop: Header=BB15_9 Depth=1
	s_and_not1_b32 vcc_lo, exec_lo, s11
	s_cbranch_vccnz .LBB15_41
; %bb.36:                               ;   in Loop: Header=BB15_9 Depth=1
	v_mov_b32_e32 v4, 0
	s_and_not1_b32 vcc_lo, exec_lo, s29
	s_cbranch_vccnz .LBB15_45
; %bb.37:                               ;   in Loop: Header=BB15_9 Depth=1
	s_and_not1_b32 vcc_lo, exec_lo, s33
	s_mov_b32 s0, 0
	s_cbranch_vccnz .LBB15_42
; %bb.38:                               ;   in Loop: Header=BB15_9 Depth=1
	v_dual_mov_b32 v4, 0 :: v_dual_mov_b32 v37, v3
	s_mov_b32 s38, 0
	s_mov_b64 s[0:1], s[18:19]
	s_mov_b64 s[24:25], s[22:23]
.LBB15_39:                              ;   Parent Loop BB15_9 Depth=1
                                        ; =>  This Inner Loop Header: Depth=2
	s_clause 0x1
	s_load_b256 s[40:47], s[0:1], 0x4
	s_load_b128 s[48:51], s[0:1], 0x24
	s_load_b128 s[52:55], s[24:25], 0x0
	s_add_u32 s0, s0, 48
	s_addc_u32 s1, s1, 0
	s_add_i32 s38, s38, 4
	s_add_u32 s24, s24, 16
	s_addc_u32 s25, s25, 0
	s_cmp_eq_u32 s34, s38
	s_waitcnt lgkmcnt(0)
	v_mul_hi_u32 v38, s41, v37
	s_delay_alu instid0(VALU_DEP_1) | instskip(NEXT) | instid1(VALU_DEP_1)
	v_add_nc_u32_e32 v38, v37, v38
	v_lshrrev_b32_e32 v38, s42, v38
	s_delay_alu instid0(VALU_DEP_1) | instskip(SKIP_1) | instid1(VALU_DEP_2)
	v_mul_hi_u32 v39, s44, v38
	v_mul_lo_u32 v42, v38, s40
	v_add_nc_u32_e32 v39, v38, v39
	s_delay_alu instid0(VALU_DEP_2) | instskip(NEXT) | instid1(VALU_DEP_2)
	v_sub_nc_u32_e32 v42, v37, v42
	v_lshrrev_b32_e32 v39, s45, v39
	s_delay_alu instid0(VALU_DEP_2) | instskip(NEXT) | instid1(VALU_DEP_2)
	v_mul_lo_u32 v42, v42, s52
	v_mul_hi_u32 v40, s47, v39
	v_mul_lo_u32 v43, v39, s43
	s_delay_alu instid0(VALU_DEP_2) | instskip(NEXT) | instid1(VALU_DEP_2)
	v_add_nc_u32_e32 v40, v39, v40
	v_sub_nc_u32_e32 v38, v38, v43
	s_delay_alu instid0(VALU_DEP_2) | instskip(NEXT) | instid1(VALU_DEP_2)
	v_lshrrev_b32_e32 v40, s48, v40
	v_mul_lo_u32 v38, v38, s53
	s_delay_alu instid0(VALU_DEP_2) | instskip(NEXT) | instid1(VALU_DEP_2)
	v_mul_hi_u32 v41, s50, v40
	v_add3_u32 v4, v42, v4, v38
	s_delay_alu instid0(VALU_DEP_2) | instskip(NEXT) | instid1(VALU_DEP_1)
	v_add_nc_u32_e32 v41, v40, v41
	v_lshrrev_b32_e32 v37, s51, v41
	v_mul_lo_u32 v41, v40, s46
	s_delay_alu instid0(VALU_DEP_2) | instskip(NEXT) | instid1(VALU_DEP_2)
	v_mul_lo_u32 v44, v37, s49
	v_sub_nc_u32_e32 v39, v39, v41
	s_delay_alu instid0(VALU_DEP_2) | instskip(NEXT) | instid1(VALU_DEP_2)
	v_sub_nc_u32_e32 v40, v40, v44
	v_mul_lo_u32 v39, v39, s54
	s_delay_alu instid0(VALU_DEP_2) | instskip(NEXT) | instid1(VALU_DEP_1)
	v_mul_lo_u32 v40, v40, s55
	v_add3_u32 v4, v39, v4, v40
	s_cbranch_scc0 .LBB15_39
; %bb.40:                               ;   in Loop: Header=BB15_9 Depth=1
	s_mov_b32 s0, s34
	s_and_not1_b32 vcc_lo, exec_lo, s36
	s_cbranch_vccz .LBB15_43
	s_branch .LBB15_45
.LBB15_41:                              ;   in Loop: Header=BB15_9 Depth=1
                                        ; implicit-def: $vgpr4
	s_branch .LBB15_46
.LBB15_42:                              ;   in Loop: Header=BB15_9 Depth=1
	v_mov_b32_e32 v37, v3
	s_and_not1_b32 vcc_lo, exec_lo, s36
	s_cbranch_vccnz .LBB15_45
.LBB15_43:                              ;   in Loop: Header=BB15_9 Depth=1
	s_lshl_b32 s1, s0, 2
	s_mul_i32 s24, s0, 12
	s_add_u32 s0, s22, s1
	s_addc_u32 s1, s23, 0
	s_add_u32 s24, s18, s24
	s_addc_u32 s25, s19, 0
	s_mov_b32 s38, s31
	.p2align	6
.LBB15_44:                              ;   Parent Loop BB15_9 Depth=1
                                        ; =>  This Inner Loop Header: Depth=2
	s_clause 0x1
	s_load_b64 s[40:41], s[24:25], 0x4
	s_load_b32 s39, s[24:25], 0xc
	s_add_u32 s24, s24, 12
	s_addc_u32 s25, s25, 0
	s_waitcnt lgkmcnt(0)
	v_mul_hi_u32 v38, s41, v37
	s_load_b32 s41, s[0:1], 0x0
	s_add_u32 s0, s0, 4
	s_addc_u32 s1, s1, 0
	s_add_i32 s38, s38, -1
	s_delay_alu instid0(SALU_CYCLE_1) | instskip(NEXT) | instid1(VALU_DEP_1)
	s_cmp_lg_u32 s38, 0
	v_add_nc_u32_e32 v38, v37, v38
	s_delay_alu instid0(VALU_DEP_1) | instskip(NEXT) | instid1(VALU_DEP_1)
	v_lshrrev_b32_e32 v40, s39, v38
	v_mul_lo_u32 v38, v40, s40
	s_delay_alu instid0(VALU_DEP_1) | instskip(SKIP_1) | instid1(VALU_DEP_1)
	v_sub_nc_u32_e32 v37, v37, v38
	s_waitcnt lgkmcnt(0)
	v_mad_u64_u32 v[38:39], null, v37, s41, v[4:5]
	s_delay_alu instid0(VALU_DEP_1)
	v_dual_mov_b32 v37, v40 :: v_dual_mov_b32 v4, v38
	s_cbranch_scc1 .LBB15_44
.LBB15_45:                              ;   in Loop: Header=BB15_9 Depth=1
	s_cbranch_execnz .LBB15_48
.LBB15_46:                              ;   in Loop: Header=BB15_9 Depth=1
	v_mul_hi_u32 v4, v3, s6
	s_and_not1_b32 vcc_lo, exec_lo, s4
	s_delay_alu instid0(VALU_DEP_1) | instskip(NEXT) | instid1(VALU_DEP_1)
	v_add_nc_u32_e32 v4, v4, v3
	v_lshrrev_b32_e32 v37, s7, v4
	s_delay_alu instid0(VALU_DEP_1) | instskip(NEXT) | instid1(VALU_DEP_1)
	v_mul_lo_u32 v4, v37, s5
	v_sub_nc_u32_e32 v3, v3, v4
	s_delay_alu instid0(VALU_DEP_1)
	v_mul_lo_u32 v4, v3, s20
	s_cbranch_vccnz .LBB15_48
; %bb.47:                               ;   in Loop: Header=BB15_9 Depth=1
	v_mul_hi_u32 v3, s9, v37
	s_delay_alu instid0(VALU_DEP_1) | instskip(NEXT) | instid1(VALU_DEP_1)
	v_add_nc_u32_e32 v3, v37, v3
	v_lshrrev_b32_e32 v3, s10, v3
	s_delay_alu instid0(VALU_DEP_1) | instskip(NEXT) | instid1(VALU_DEP_1)
	v_mul_lo_u32 v3, v3, s8
	v_sub_nc_u32_e32 v3, v37, v3
	s_delay_alu instid0(VALU_DEP_1) | instskip(NEXT) | instid1(VALU_DEP_1)
	v_mad_u64_u32 v[37:38], null, v3, s21, v[4:5]
	v_mov_b32_e32 v4, v37
.LBB15_48:                              ;   in Loop: Header=BB15_9 Depth=1
	v_mul_f32_e32 v3, 0.15915494, v7
	s_delay_alu instid0(VALU_DEP_1) | instskip(SKIP_2) | instid1(VALU_DEP_1)
	v_cos_f32_e32 v3, v3
	s_waitcnt_depctr 0xfff
	v_mul_f32_e32 v3, v3, v13
	v_fma_f32 v3, v3, s15, s14
	s_delay_alu instid0(VALU_DEP_1) | instskip(SKIP_1) | instid1(VALU_DEP_2)
	v_mul_f32_e32 v7, 0x3fb8aa3b, v3
	v_cmp_ngt_f32_e32 vcc_lo, 0xc2ce8ed0, v3
	v_fma_f32 v13, 0x3fb8aa3b, v3, -v7
	v_rndne_f32_e32 v37, v7
	s_delay_alu instid0(VALU_DEP_2) | instskip(NEXT) | instid1(VALU_DEP_2)
	v_fmac_f32_e32 v13, 0x32a5705f, v3
	v_sub_f32_e32 v7, v7, v37
	s_delay_alu instid0(VALU_DEP_1) | instskip(SKIP_1) | instid1(VALU_DEP_2)
	v_add_f32_e32 v7, v7, v13
	v_cvt_i32_f32_e32 v13, v37
	v_exp_f32_e32 v7, v7
	s_waitcnt_depctr 0xfff
	v_ldexp_f32 v7, v7, v13
	s_delay_alu instid0(VALU_DEP_1) | instskip(SKIP_1) | instid1(VALU_DEP_2)
	v_cndmask_b32_e32 v7, 0, v7, vcc_lo
	v_cmp_nlt_f32_e32 vcc_lo, 0x42b17218, v3
	v_cndmask_b32_e32 v3, 0x7f800000, v7, vcc_lo
	s_delay_alu instid0(VALU_DEP_1) | instskip(SKIP_1) | instid1(VALU_DEP_2)
	v_bfe_u32 v7, v3, 16, 1
	v_cmp_o_f32_e32 vcc_lo, v3, v3
	v_add3_u32 v7, v3, v7, 0x7fff
	s_delay_alu instid0(VALU_DEP_1) | instskip(NEXT) | instid1(VALU_DEP_1)
	v_lshrrev_b32_e32 v7, 16, v7
	v_cndmask_b32_e32 v3, 0x7fc0, v7, vcc_lo
	global_store_b16 v4, v3, s[12:13]
.LBB15_49:                              ;   in Loop: Header=BB15_9 Depth=1
	s_or_b32 exec_lo, exec_lo, s37
	v_cvt_f32_u32_e32 v3, v5
	v_cvt_f32_u32_e32 v6, v6
	s_mov_b32 s37, exec_lo
	s_delay_alu instid0(VALU_DEP_2) | instskip(NEXT) | instid1(VALU_DEP_1)
	v_fmaak_f32 v3, 0x2f800000, v3, 0x2f800000
	v_cmp_gt_f32_e32 vcc_lo, 0x800000, v3
	v_cndmask_b32_e64 v4, 1.0, 0x4f800000, vcc_lo
	s_delay_alu instid0(VALU_DEP_1) | instskip(NEXT) | instid1(VALU_DEP_1)
	v_mul_f32_e32 v3, v3, v4
	v_log_f32_e32 v3, v3
	s_waitcnt_depctr 0xfff
	v_mul_f32_e32 v4, 0x3f317217, v3
	s_delay_alu instid0(VALU_DEP_1) | instskip(NEXT) | instid1(VALU_DEP_1)
	v_fma_f32 v5, 0x3f317217, v3, -v4
	v_fmac_f32_e32 v5, 0x3377d1cf, v3
	s_delay_alu instid0(VALU_DEP_1) | instskip(SKIP_2) | instid1(VALU_DEP_3)
	v_add_f32_e32 v4, v4, v5
	v_cndmask_b32_e64 v5, 0, 0x41b17218, vcc_lo
	v_cmp_gt_f32_e64 vcc_lo, 0x7f800000, |v3|
	v_cndmask_b32_e32 v3, v3, v4, vcc_lo
	s_delay_alu instid0(VALU_DEP_1) | instskip(NEXT) | instid1(VALU_DEP_1)
	v_sub_f32_e32 v3, v3, v5
	v_mul_f32_e32 v3, -2.0, v3
	s_delay_alu instid0(VALU_DEP_1) | instskip(SKIP_1) | instid1(VALU_DEP_1)
	v_cmp_gt_f32_e32 vcc_lo, 0xf800000, v3
	v_mul_f32_e32 v4, 0x4f800000, v3
	v_cndmask_b32_e32 v7, v3, v4, vcc_lo
	s_delay_alu instid0(VALU_DEP_1) | instskip(SKIP_3) | instid1(VALU_DEP_2)
	v_sqrt_f32_e32 v3, v7
	s_waitcnt_depctr 0xfff
	v_add_nc_u32_e32 v4, -1, v3
	v_add_nc_u32_e32 v5, 1, v3
	v_fma_f32 v13, -v4, v3, v7
	s_delay_alu instid0(VALU_DEP_2) | instskip(NEXT) | instid1(VALU_DEP_2)
	v_fma_f32 v37, -v5, v3, v7
	v_cmp_ge_f32_e64 s0, 0, v13
	s_delay_alu instid0(VALU_DEP_1) | instskip(NEXT) | instid1(VALU_DEP_3)
	v_cndmask_b32_e64 v3, v3, v4, s0
	v_cmp_lt_f32_e64 s0, 0, v37
	s_delay_alu instid0(VALU_DEP_1) | instskip(SKIP_1) | instid1(VALU_DEP_1)
	v_cndmask_b32_e64 v5, v3, v5, s0
	v_add_co_u32 v3, s0, v10, s30
	v_add_co_ci_u32_e64 v4, s0, 0, v11, s0
	s_delay_alu instid0(VALU_DEP_3) | instskip(SKIP_1) | instid1(VALU_DEP_2)
	v_mul_f32_e32 v13, 0x37800000, v5
	v_cmp_class_f32_e64 s0, v7, 0x260
	v_cndmask_b32_e32 v13, v5, v13, vcc_lo
	v_fmaak_f32 v5, 0x30c90fdb, v6, 0x30c90fdb
	s_delay_alu instid0(VALU_DEP_2)
	v_cndmask_b32_e64 v6, v13, v7, s0
	v_cmpx_gt_i64_e64 s[16:17], v[3:4]
	s_cbranch_execz .LBB15_64
; %bb.50:                               ;   in Loop: Header=BB15_9 Depth=1
	s_and_not1_b32 vcc_lo, exec_lo, s11
	s_cbranch_vccnz .LBB15_56
; %bb.51:                               ;   in Loop: Header=BB15_9 Depth=1
	v_mov_b32_e32 v4, 0
	s_and_not1_b32 vcc_lo, exec_lo, s29
	s_cbranch_vccnz .LBB15_60
; %bb.52:                               ;   in Loop: Header=BB15_9 Depth=1
	s_and_not1_b32 vcc_lo, exec_lo, s33
	s_mov_b32 s0, 0
	s_cbranch_vccnz .LBB15_57
; %bb.53:                               ;   in Loop: Header=BB15_9 Depth=1
	v_dual_mov_b32 v4, 0 :: v_dual_mov_b32 v7, v3
	s_mov_b32 s38, 0
	s_mov_b64 s[0:1], s[18:19]
	s_mov_b64 s[24:25], s[22:23]
.LBB15_54:                              ;   Parent Loop BB15_9 Depth=1
                                        ; =>  This Inner Loop Header: Depth=2
	s_clause 0x1
	s_load_b256 s[40:47], s[0:1], 0x4
	s_load_b128 s[48:51], s[0:1], 0x24
	s_load_b128 s[52:55], s[24:25], 0x0
	s_add_u32 s0, s0, 48
	s_addc_u32 s1, s1, 0
	s_add_i32 s38, s38, 4
	s_add_u32 s24, s24, 16
	s_addc_u32 s25, s25, 0
	s_cmp_eq_u32 s34, s38
	s_waitcnt lgkmcnt(0)
	v_mul_hi_u32 v13, s41, v7
	s_delay_alu instid0(VALU_DEP_1) | instskip(NEXT) | instid1(VALU_DEP_1)
	v_add_nc_u32_e32 v13, v7, v13
	v_lshrrev_b32_e32 v13, s42, v13
	s_delay_alu instid0(VALU_DEP_1) | instskip(SKIP_1) | instid1(VALU_DEP_2)
	v_mul_hi_u32 v37, s44, v13
	v_mul_lo_u32 v40, v13, s40
	v_add_nc_u32_e32 v37, v13, v37
	s_delay_alu instid0(VALU_DEP_2) | instskip(NEXT) | instid1(VALU_DEP_2)
	v_sub_nc_u32_e32 v40, v7, v40
	v_lshrrev_b32_e32 v37, s45, v37
	s_delay_alu instid0(VALU_DEP_2) | instskip(NEXT) | instid1(VALU_DEP_2)
	v_mul_lo_u32 v40, v40, s52
	v_mul_hi_u32 v38, s47, v37
	v_mul_lo_u32 v41, v37, s43
	s_delay_alu instid0(VALU_DEP_2) | instskip(NEXT) | instid1(VALU_DEP_2)
	v_add_nc_u32_e32 v38, v37, v38
	v_sub_nc_u32_e32 v13, v13, v41
	s_delay_alu instid0(VALU_DEP_2) | instskip(NEXT) | instid1(VALU_DEP_2)
	v_lshrrev_b32_e32 v38, s48, v38
	v_mul_lo_u32 v13, v13, s53
	s_delay_alu instid0(VALU_DEP_2) | instskip(NEXT) | instid1(VALU_DEP_2)
	v_mul_hi_u32 v39, s50, v38
	v_add3_u32 v4, v40, v4, v13
	s_delay_alu instid0(VALU_DEP_2) | instskip(NEXT) | instid1(VALU_DEP_1)
	v_add_nc_u32_e32 v39, v38, v39
	v_lshrrev_b32_e32 v7, s51, v39
	v_mul_lo_u32 v39, v38, s46
	s_delay_alu instid0(VALU_DEP_2) | instskip(NEXT) | instid1(VALU_DEP_2)
	v_mul_lo_u32 v42, v7, s49
	v_sub_nc_u32_e32 v37, v37, v39
	s_delay_alu instid0(VALU_DEP_2) | instskip(NEXT) | instid1(VALU_DEP_2)
	v_sub_nc_u32_e32 v38, v38, v42
	v_mul_lo_u32 v37, v37, s54
	s_delay_alu instid0(VALU_DEP_2) | instskip(NEXT) | instid1(VALU_DEP_1)
	v_mul_lo_u32 v38, v38, s55
	v_add3_u32 v4, v37, v4, v38
	s_cbranch_scc0 .LBB15_54
; %bb.55:                               ;   in Loop: Header=BB15_9 Depth=1
	s_mov_b32 s0, s34
	s_and_not1_b32 vcc_lo, exec_lo, s36
	s_cbranch_vccz .LBB15_58
	s_branch .LBB15_60
.LBB15_56:                              ;   in Loop: Header=BB15_9 Depth=1
                                        ; implicit-def: $vgpr4
	s_branch .LBB15_61
.LBB15_57:                              ;   in Loop: Header=BB15_9 Depth=1
	v_mov_b32_e32 v7, v3
	s_and_not1_b32 vcc_lo, exec_lo, s36
	s_cbranch_vccnz .LBB15_60
.LBB15_58:                              ;   in Loop: Header=BB15_9 Depth=1
	s_lshl_b32 s1, s0, 2
	s_mul_i32 s24, s0, 12
	s_add_u32 s0, s22, s1
	s_addc_u32 s1, s23, 0
	s_add_u32 s24, s18, s24
	s_addc_u32 s25, s19, 0
	s_mov_b32 s38, s31
	.p2align	6
.LBB15_59:                              ;   Parent Loop BB15_9 Depth=1
                                        ; =>  This Inner Loop Header: Depth=2
	s_clause 0x1
	s_load_b64 s[40:41], s[24:25], 0x4
	s_load_b32 s39, s[24:25], 0xc
	s_add_u32 s24, s24, 12
	s_addc_u32 s25, s25, 0
	s_waitcnt lgkmcnt(0)
	v_mul_hi_u32 v13, s41, v7
	s_load_b32 s41, s[0:1], 0x0
	s_add_u32 s0, s0, 4
	s_addc_u32 s1, s1, 0
	s_add_i32 s38, s38, -1
	s_delay_alu instid0(SALU_CYCLE_1) | instskip(NEXT) | instid1(VALU_DEP_1)
	s_cmp_lg_u32 s38, 0
	v_add_nc_u32_e32 v13, v7, v13
	s_delay_alu instid0(VALU_DEP_1) | instskip(NEXT) | instid1(VALU_DEP_1)
	v_lshrrev_b32_e32 v13, s39, v13
	v_mul_lo_u32 v37, v13, s40
	s_delay_alu instid0(VALU_DEP_1) | instskip(SKIP_1) | instid1(VALU_DEP_1)
	v_sub_nc_u32_e32 v7, v7, v37
	s_waitcnt lgkmcnt(0)
	v_mad_u64_u32 v[37:38], null, v7, s41, v[4:5]
	v_mov_b32_e32 v7, v13
	s_delay_alu instid0(VALU_DEP_2)
	v_mov_b32_e32 v4, v37
	s_cbranch_scc1 .LBB15_59
.LBB15_60:                              ;   in Loop: Header=BB15_9 Depth=1
	s_cbranch_execnz .LBB15_63
.LBB15_61:                              ;   in Loop: Header=BB15_9 Depth=1
	v_mul_hi_u32 v4, v3, s6
	s_and_not1_b32 vcc_lo, exec_lo, s4
	s_delay_alu instid0(VALU_DEP_1) | instskip(NEXT) | instid1(VALU_DEP_1)
	v_add_nc_u32_e32 v4, v4, v3
	v_lshrrev_b32_e32 v7, s7, v4
	s_delay_alu instid0(VALU_DEP_1) | instskip(NEXT) | instid1(VALU_DEP_1)
	v_mul_lo_u32 v4, v7, s5
	v_sub_nc_u32_e32 v3, v3, v4
	s_delay_alu instid0(VALU_DEP_1)
	v_mul_lo_u32 v4, v3, s20
	s_cbranch_vccnz .LBB15_63
; %bb.62:                               ;   in Loop: Header=BB15_9 Depth=1
	v_mul_hi_u32 v3, s9, v7
	s_delay_alu instid0(VALU_DEP_1) | instskip(NEXT) | instid1(VALU_DEP_1)
	v_add_nc_u32_e32 v3, v7, v3
	v_lshrrev_b32_e32 v3, s10, v3
	s_delay_alu instid0(VALU_DEP_1) | instskip(NEXT) | instid1(VALU_DEP_1)
	v_mul_lo_u32 v3, v3, s8
	v_sub_nc_u32_e32 v3, v7, v3
	s_delay_alu instid0(VALU_DEP_1) | instskip(NEXT) | instid1(VALU_DEP_1)
	v_mad_u64_u32 v[37:38], null, v3, s21, v[4:5]
	v_mov_b32_e32 v4, v37
.LBB15_63:                              ;   in Loop: Header=BB15_9 Depth=1
	v_mul_f32_e32 v3, 0.15915494, v5
	s_delay_alu instid0(VALU_DEP_1) | instskip(SKIP_2) | instid1(VALU_DEP_1)
	v_sin_f32_e32 v3, v3
	s_waitcnt_depctr 0xfff
	v_mul_f32_e32 v3, v3, v6
	v_fma_f32 v3, v3, s15, s14
	s_delay_alu instid0(VALU_DEP_1) | instskip(SKIP_1) | instid1(VALU_DEP_2)
	v_mul_f32_e32 v7, 0x3fb8aa3b, v3
	v_cmp_ngt_f32_e32 vcc_lo, 0xc2ce8ed0, v3
	v_fma_f32 v13, 0x3fb8aa3b, v3, -v7
	v_rndne_f32_e32 v37, v7
	s_delay_alu instid0(VALU_DEP_2) | instskip(NEXT) | instid1(VALU_DEP_2)
	v_fmac_f32_e32 v13, 0x32a5705f, v3
	v_sub_f32_e32 v7, v7, v37
	s_delay_alu instid0(VALU_DEP_1) | instskip(SKIP_1) | instid1(VALU_DEP_2)
	v_add_f32_e32 v7, v7, v13
	v_cvt_i32_f32_e32 v13, v37
	v_exp_f32_e32 v7, v7
	s_waitcnt_depctr 0xfff
	v_ldexp_f32 v7, v7, v13
	s_delay_alu instid0(VALU_DEP_1) | instskip(SKIP_1) | instid1(VALU_DEP_2)
	v_cndmask_b32_e32 v7, 0, v7, vcc_lo
	v_cmp_nlt_f32_e32 vcc_lo, 0x42b17218, v3
	v_cndmask_b32_e32 v3, 0x7f800000, v7, vcc_lo
	s_delay_alu instid0(VALU_DEP_1) | instskip(SKIP_1) | instid1(VALU_DEP_2)
	v_bfe_u32 v7, v3, 16, 1
	v_cmp_o_f32_e32 vcc_lo, v3, v3
	v_add3_u32 v7, v3, v7, 0x7fff
	s_delay_alu instid0(VALU_DEP_1) | instskip(NEXT) | instid1(VALU_DEP_1)
	v_lshrrev_b32_e32 v7, 16, v7
	v_cndmask_b32_e32 v3, 0x7fc0, v7, vcc_lo
	global_store_b16 v4, v3, s[12:13]
.LBB15_64:                              ;   in Loop: Header=BB15_9 Depth=1
	s_or_b32 exec_lo, exec_lo, s37
	v_add_co_u32 v3, vcc_lo, v10, s35
	v_add_co_ci_u32_e32 v4, vcc_lo, 0, v11, vcc_lo
	s_mov_b32 s37, exec_lo
	s_delay_alu instid0(VALU_DEP_1)
	v_cmpx_gt_i64_e64 s[16:17], v[3:4]
	s_cbranch_execz .LBB15_8
; %bb.65:                               ;   in Loop: Header=BB15_9 Depth=1
	s_and_not1_b32 vcc_lo, exec_lo, s11
	s_cbranch_vccnz .LBB15_71
; %bb.66:                               ;   in Loop: Header=BB15_9 Depth=1
	v_mov_b32_e32 v4, 0
	s_and_not1_b32 vcc_lo, exec_lo, s29
	s_cbranch_vccnz .LBB15_75
; %bb.67:                               ;   in Loop: Header=BB15_9 Depth=1
	s_and_not1_b32 vcc_lo, exec_lo, s33
	s_mov_b32 s0, 0
	s_cbranch_vccnz .LBB15_72
; %bb.68:                               ;   in Loop: Header=BB15_9 Depth=1
	v_dual_mov_b32 v4, 0 :: v_dual_mov_b32 v7, v3
	s_mov_b32 s38, 0
	s_mov_b64 s[0:1], s[18:19]
	s_mov_b64 s[24:25], s[22:23]
.LBB15_69:                              ;   Parent Loop BB15_9 Depth=1
                                        ; =>  This Inner Loop Header: Depth=2
	s_clause 0x1
	s_load_b256 s[40:47], s[0:1], 0x4
	s_load_b128 s[48:51], s[0:1], 0x24
	s_load_b128 s[52:55], s[24:25], 0x0
	s_add_u32 s0, s0, 48
	s_addc_u32 s1, s1, 0
	s_add_i32 s38, s38, 4
	s_add_u32 s24, s24, 16
	s_addc_u32 s25, s25, 0
	s_cmp_eq_u32 s34, s38
	s_waitcnt lgkmcnt(0)
	v_mul_hi_u32 v13, s41, v7
	s_delay_alu instid0(VALU_DEP_1) | instskip(NEXT) | instid1(VALU_DEP_1)
	v_add_nc_u32_e32 v13, v7, v13
	v_lshrrev_b32_e32 v13, s42, v13
	s_delay_alu instid0(VALU_DEP_1) | instskip(SKIP_1) | instid1(VALU_DEP_2)
	v_mul_hi_u32 v37, s44, v13
	v_mul_lo_u32 v40, v13, s40
	v_add_nc_u32_e32 v37, v13, v37
	s_delay_alu instid0(VALU_DEP_2) | instskip(NEXT) | instid1(VALU_DEP_2)
	v_sub_nc_u32_e32 v40, v7, v40
	v_lshrrev_b32_e32 v37, s45, v37
	s_delay_alu instid0(VALU_DEP_2) | instskip(NEXT) | instid1(VALU_DEP_2)
	v_mul_lo_u32 v40, v40, s52
	v_mul_hi_u32 v38, s47, v37
	v_mul_lo_u32 v41, v37, s43
	s_delay_alu instid0(VALU_DEP_2) | instskip(NEXT) | instid1(VALU_DEP_2)
	v_add_nc_u32_e32 v38, v37, v38
	v_sub_nc_u32_e32 v13, v13, v41
	s_delay_alu instid0(VALU_DEP_2) | instskip(NEXT) | instid1(VALU_DEP_2)
	v_lshrrev_b32_e32 v38, s48, v38
	v_mul_lo_u32 v13, v13, s53
	s_delay_alu instid0(VALU_DEP_2) | instskip(NEXT) | instid1(VALU_DEP_2)
	v_mul_hi_u32 v39, s50, v38
	v_add3_u32 v4, v40, v4, v13
	s_delay_alu instid0(VALU_DEP_2) | instskip(NEXT) | instid1(VALU_DEP_1)
	v_add_nc_u32_e32 v39, v38, v39
	v_lshrrev_b32_e32 v7, s51, v39
	v_mul_lo_u32 v39, v38, s46
	s_delay_alu instid0(VALU_DEP_2) | instskip(NEXT) | instid1(VALU_DEP_2)
	v_mul_lo_u32 v42, v7, s49
	v_sub_nc_u32_e32 v37, v37, v39
	s_delay_alu instid0(VALU_DEP_2) | instskip(NEXT) | instid1(VALU_DEP_2)
	v_sub_nc_u32_e32 v38, v38, v42
	v_mul_lo_u32 v37, v37, s54
	s_delay_alu instid0(VALU_DEP_2) | instskip(NEXT) | instid1(VALU_DEP_1)
	v_mul_lo_u32 v38, v38, s55
	v_add3_u32 v4, v37, v4, v38
	s_cbranch_scc0 .LBB15_69
; %bb.70:                               ;   in Loop: Header=BB15_9 Depth=1
	s_mov_b32 s0, s34
	s_and_not1_b32 vcc_lo, exec_lo, s36
	s_cbranch_vccz .LBB15_73
	s_branch .LBB15_75
.LBB15_71:                              ;   in Loop: Header=BB15_9 Depth=1
                                        ; implicit-def: $vgpr4
	s_branch .LBB15_76
.LBB15_72:                              ;   in Loop: Header=BB15_9 Depth=1
	v_mov_b32_e32 v7, v3
	s_and_not1_b32 vcc_lo, exec_lo, s36
	s_cbranch_vccnz .LBB15_75
.LBB15_73:                              ;   in Loop: Header=BB15_9 Depth=1
	s_lshl_b32 s1, s0, 2
	s_mul_i32 s24, s0, 12
	s_add_u32 s0, s22, s1
	s_addc_u32 s1, s23, 0
	s_add_u32 s24, s18, s24
	s_addc_u32 s25, s19, 0
	s_mov_b32 s38, s31
	.p2align	6
.LBB15_74:                              ;   Parent Loop BB15_9 Depth=1
                                        ; =>  This Inner Loop Header: Depth=2
	s_clause 0x1
	s_load_b64 s[40:41], s[24:25], 0x4
	s_load_b32 s39, s[24:25], 0xc
	s_add_u32 s24, s24, 12
	s_addc_u32 s25, s25, 0
	s_waitcnt lgkmcnt(0)
	v_mul_hi_u32 v13, s41, v7
	s_load_b32 s41, s[0:1], 0x0
	s_add_u32 s0, s0, 4
	s_addc_u32 s1, s1, 0
	s_add_i32 s38, s38, -1
	s_delay_alu instid0(SALU_CYCLE_1) | instskip(NEXT) | instid1(VALU_DEP_1)
	s_cmp_lg_u32 s38, 0
	v_add_nc_u32_e32 v13, v7, v13
	s_delay_alu instid0(VALU_DEP_1) | instskip(NEXT) | instid1(VALU_DEP_1)
	v_lshrrev_b32_e32 v13, s39, v13
	v_mul_lo_u32 v37, v13, s40
	s_delay_alu instid0(VALU_DEP_1) | instskip(SKIP_1) | instid1(VALU_DEP_1)
	v_sub_nc_u32_e32 v7, v7, v37
	s_waitcnt lgkmcnt(0)
	v_mad_u64_u32 v[37:38], null, v7, s41, v[4:5]
	v_mov_b32_e32 v7, v13
	s_delay_alu instid0(VALU_DEP_2)
	v_mov_b32_e32 v4, v37
	s_cbranch_scc1 .LBB15_74
.LBB15_75:                              ;   in Loop: Header=BB15_9 Depth=1
	s_cbranch_execnz .LBB15_7
.LBB15_76:                              ;   in Loop: Header=BB15_9 Depth=1
	v_mul_hi_u32 v4, v3, s6
	s_and_not1_b32 vcc_lo, exec_lo, s4
	s_delay_alu instid0(VALU_DEP_1) | instskip(NEXT) | instid1(VALU_DEP_1)
	v_add_nc_u32_e32 v4, v4, v3
	v_lshrrev_b32_e32 v7, s7, v4
	s_delay_alu instid0(VALU_DEP_1) | instskip(NEXT) | instid1(VALU_DEP_1)
	v_mul_lo_u32 v4, v7, s5
	v_sub_nc_u32_e32 v3, v3, v4
	s_delay_alu instid0(VALU_DEP_1)
	v_mul_lo_u32 v4, v3, s20
	s_cbranch_vccnz .LBB15_7
; %bb.77:                               ;   in Loop: Header=BB15_9 Depth=1
	v_mul_hi_u32 v3, s9, v7
	s_delay_alu instid0(VALU_DEP_1) | instskip(NEXT) | instid1(VALU_DEP_1)
	v_add_nc_u32_e32 v3, v7, v3
	v_lshrrev_b32_e32 v3, s10, v3
	s_delay_alu instid0(VALU_DEP_1) | instskip(NEXT) | instid1(VALU_DEP_1)
	v_mul_lo_u32 v3, v3, s8
	v_sub_nc_u32_e32 v3, v7, v3
	s_delay_alu instid0(VALU_DEP_1) | instskip(NEXT) | instid1(VALU_DEP_1)
	v_mad_u64_u32 v[37:38], null, v3, s21, v[4:5]
	v_mov_b32_e32 v4, v37
	s_branch .LBB15_7
.LBB15_78:
	s_endpgm
.LBB15_79:
                                        ; implicit-def: $sgpr2_sgpr3
	s_branch .LBB15_4
	.section	.rodata,"a",@progbits
	.p2align	6, 0x0
	.amdhsa_kernel _ZN2at6native12_GLOBAL__N_143distribution_elementwise_grid_stride_kernelIfLi4EZNS0_9templates4cuda20normal_and_transformIN3c108BFloat16EfPNS_17CUDAGeneratorImplEZZZNS4_17log_normal_kernelIS9_EEvRNS_18TensorIteratorBaseEddT_ENKUlvE_clEvENKUlvE2_clEvEUlfE_EEvSC_T1_T2_EUlP25hiprandStatePhilox4_32_10E0_ZNS1_27distribution_nullary_kernelIS7_f15HIP_vector_typeIfLj4EES9_SL_SG_EEvSC_SI_RKT3_T4_EUlifE0_EEvlNS_15PhiloxCudaStateESH_SI_
		.amdhsa_group_segment_fixed_size 0
		.amdhsa_private_segment_fixed_size 0
		.amdhsa_kernarg_size 584
		.amdhsa_user_sgpr_count 15
		.amdhsa_user_sgpr_dispatch_ptr 0
		.amdhsa_user_sgpr_queue_ptr 0
		.amdhsa_user_sgpr_kernarg_segment_ptr 1
		.amdhsa_user_sgpr_dispatch_id 0
		.amdhsa_user_sgpr_private_segment_size 0
		.amdhsa_wavefront_size32 1
		.amdhsa_uses_dynamic_stack 0
		.amdhsa_enable_private_segment 0
		.amdhsa_system_sgpr_workgroup_id_x 1
		.amdhsa_system_sgpr_workgroup_id_y 0
		.amdhsa_system_sgpr_workgroup_id_z 0
		.amdhsa_system_sgpr_workgroup_info 0
		.amdhsa_system_vgpr_workitem_id 0
		.amdhsa_next_free_vgpr 45
		.amdhsa_next_free_sgpr 56
		.amdhsa_reserve_vcc 1
		.amdhsa_float_round_mode_32 0
		.amdhsa_float_round_mode_16_64 0
		.amdhsa_float_denorm_mode_32 3
		.amdhsa_float_denorm_mode_16_64 3
		.amdhsa_dx10_clamp 1
		.amdhsa_ieee_mode 1
		.amdhsa_fp16_overflow 0
		.amdhsa_workgroup_processor_mode 1
		.amdhsa_memory_ordered 1
		.amdhsa_forward_progress 0
		.amdhsa_shared_vgpr_count 0
		.amdhsa_exception_fp_ieee_invalid_op 0
		.amdhsa_exception_fp_denorm_src 0
		.amdhsa_exception_fp_ieee_div_zero 0
		.amdhsa_exception_fp_ieee_overflow 0
		.amdhsa_exception_fp_ieee_underflow 0
		.amdhsa_exception_fp_ieee_inexact 0
		.amdhsa_exception_int_div_zero 0
	.end_amdhsa_kernel
	.section	.text._ZN2at6native12_GLOBAL__N_143distribution_elementwise_grid_stride_kernelIfLi4EZNS0_9templates4cuda20normal_and_transformIN3c108BFloat16EfPNS_17CUDAGeneratorImplEZZZNS4_17log_normal_kernelIS9_EEvRNS_18TensorIteratorBaseEddT_ENKUlvE_clEvENKUlvE2_clEvEUlfE_EEvSC_T1_T2_EUlP25hiprandStatePhilox4_32_10E0_ZNS1_27distribution_nullary_kernelIS7_f15HIP_vector_typeIfLj4EES9_SL_SG_EEvSC_SI_RKT3_T4_EUlifE0_EEvlNS_15PhiloxCudaStateESH_SI_,"axG",@progbits,_ZN2at6native12_GLOBAL__N_143distribution_elementwise_grid_stride_kernelIfLi4EZNS0_9templates4cuda20normal_and_transformIN3c108BFloat16EfPNS_17CUDAGeneratorImplEZZZNS4_17log_normal_kernelIS9_EEvRNS_18TensorIteratorBaseEddT_ENKUlvE_clEvENKUlvE2_clEvEUlfE_EEvSC_T1_T2_EUlP25hiprandStatePhilox4_32_10E0_ZNS1_27distribution_nullary_kernelIS7_f15HIP_vector_typeIfLj4EES9_SL_SG_EEvSC_SI_RKT3_T4_EUlifE0_EEvlNS_15PhiloxCudaStateESH_SI_,comdat
.Lfunc_end15:
	.size	_ZN2at6native12_GLOBAL__N_143distribution_elementwise_grid_stride_kernelIfLi4EZNS0_9templates4cuda20normal_and_transformIN3c108BFloat16EfPNS_17CUDAGeneratorImplEZZZNS4_17log_normal_kernelIS9_EEvRNS_18TensorIteratorBaseEddT_ENKUlvE_clEvENKUlvE2_clEvEUlfE_EEvSC_T1_T2_EUlP25hiprandStatePhilox4_32_10E0_ZNS1_27distribution_nullary_kernelIS7_f15HIP_vector_typeIfLj4EES9_SL_SG_EEvSC_SI_RKT3_T4_EUlifE0_EEvlNS_15PhiloxCudaStateESH_SI_, .Lfunc_end15-_ZN2at6native12_GLOBAL__N_143distribution_elementwise_grid_stride_kernelIfLi4EZNS0_9templates4cuda20normal_and_transformIN3c108BFloat16EfPNS_17CUDAGeneratorImplEZZZNS4_17log_normal_kernelIS9_EEvRNS_18TensorIteratorBaseEddT_ENKUlvE_clEvENKUlvE2_clEvEUlfE_EEvSC_T1_T2_EUlP25hiprandStatePhilox4_32_10E0_ZNS1_27distribution_nullary_kernelIS7_f15HIP_vector_typeIfLj4EES9_SL_SG_EEvSC_SI_RKT3_T4_EUlifE0_EEvlNS_15PhiloxCudaStateESH_SI_
                                        ; -- End function
	.section	.AMDGPU.csdata,"",@progbits
; Kernel info:
; codeLenInByte = 6380
; NumSgprs: 58
; NumVgprs: 45
; ScratchSize: 0
; MemoryBound: 0
; FloatMode: 240
; IeeeMode: 1
; LDSByteSize: 0 bytes/workgroup (compile time only)
; SGPRBlocks: 7
; VGPRBlocks: 5
; NumSGPRsForWavesPerEU: 58
; NumVGPRsForWavesPerEU: 45
; Occupancy: 16
; WaveLimiterHint : 1
; COMPUTE_PGM_RSRC2:SCRATCH_EN: 0
; COMPUTE_PGM_RSRC2:USER_SGPR: 15
; COMPUTE_PGM_RSRC2:TRAP_HANDLER: 0
; COMPUTE_PGM_RSRC2:TGID_X_EN: 1
; COMPUTE_PGM_RSRC2:TGID_Y_EN: 0
; COMPUTE_PGM_RSRC2:TGID_Z_EN: 0
; COMPUTE_PGM_RSRC2:TIDIG_COMP_CNT: 0
	.text
	.p2alignl 7, 3214868480
	.fill 96, 4, 3214868480
	.type	__hip_cuid_ee775ce23018f0a9,@object ; @__hip_cuid_ee775ce23018f0a9
	.section	.bss,"aw",@nobits
	.globl	__hip_cuid_ee775ce23018f0a9
__hip_cuid_ee775ce23018f0a9:
	.byte	0                               ; 0x0
	.size	__hip_cuid_ee775ce23018f0a9, 1

	.ident	"AMD clang version 19.0.0git (https://github.com/RadeonOpenCompute/llvm-project roc-6.4.0 25133 c7fe45cf4b819c5991fe208aaa96edf142730f1d)"
	.section	".note.GNU-stack","",@progbits
	.addrsig
	.addrsig_sym __hip_cuid_ee775ce23018f0a9
	.amdgpu_metadata
---
amdhsa.kernels:
  - .args:
      - .offset:         0
        .size:           8
        .value_kind:     by_value
      - .offset:         8
        .size:           32
        .value_kind:     by_value
      - .offset:         40
        .size:           1
        .value_kind:     by_value
      - .offset:         48
        .size:           32
        .value_kind:     by_value
      - .offset:         80
        .size:           4
        .value_kind:     hidden_block_count_x
      - .offset:         84
        .size:           4
        .value_kind:     hidden_block_count_y
      - .offset:         88
        .size:           4
        .value_kind:     hidden_block_count_z
      - .offset:         92
        .size:           2
        .value_kind:     hidden_group_size_x
      - .offset:         94
        .size:           2
        .value_kind:     hidden_group_size_y
      - .offset:         96
        .size:           2
        .value_kind:     hidden_group_size_z
      - .offset:         98
        .size:           2
        .value_kind:     hidden_remainder_x
      - .offset:         100
        .size:           2
        .value_kind:     hidden_remainder_y
      - .offset:         102
        .size:           2
        .value_kind:     hidden_remainder_z
      - .offset:         120
        .size:           8
        .value_kind:     hidden_global_offset_x
      - .offset:         128
        .size:           8
        .value_kind:     hidden_global_offset_y
      - .offset:         136
        .size:           8
        .value_kind:     hidden_global_offset_z
      - .offset:         144
        .size:           2
        .value_kind:     hidden_grid_dims
    .group_segment_fixed_size: 0
    .kernarg_segment_align: 8
    .kernarg_segment_size: 336
    .language:       OpenCL C
    .language_version:
      - 2
      - 0
    .max_flat_workgroup_size: 256
    .name:           _ZN2at6native12_GLOBAL__N_143distribution_elementwise_grid_stride_kernelIdLi2EZNS0_9templates4cuda20normal_and_transformIddPNS_17CUDAGeneratorImplEZZZNS4_17log_normal_kernelIS7_EEvRNS_18TensorIteratorBaseEddT_ENKUlvE_clEvENKUlvE_clEvEUldE_EEvSA_T1_T2_EUlP25hiprandStatePhilox4_32_10E_ZNS1_27distribution_nullary_kernelIdd15HIP_vector_typeIdLj2EES7_SJ_SE_EEvSA_SG_RKT3_T4_EUlidE_EEvlNS_15PhiloxCudaStateESF_SG_
    .private_segment_fixed_size: 0
    .sgpr_count:     96
    .sgpr_spill_count: 0
    .symbol:         _ZN2at6native12_GLOBAL__N_143distribution_elementwise_grid_stride_kernelIdLi2EZNS0_9templates4cuda20normal_and_transformIddPNS_17CUDAGeneratorImplEZZZNS4_17log_normal_kernelIS7_EEvRNS_18TensorIteratorBaseEddT_ENKUlvE_clEvENKUlvE_clEvEUldE_EEvSA_T1_T2_EUlP25hiprandStatePhilox4_32_10E_ZNS1_27distribution_nullary_kernelIdd15HIP_vector_typeIdLj2EES7_SJ_SE_EEvSA_SG_RKT3_T4_EUlidE_EEvlNS_15PhiloxCudaStateESF_SG_.kd
    .uniform_work_group_size: 1
    .uses_dynamic_stack: false
    .vgpr_count:     58
    .vgpr_spill_count: 0
    .wavefront_size: 32
    .workgroup_processor_mode: 1
  - .args:
      - .offset:         0
        .size:           8
        .value_kind:     by_value
      - .offset:         8
        .size:           32
        .value_kind:     by_value
      - .offset:         40
        .size:           1
        .value_kind:     by_value
      - .offset:         48
        .size:           288
        .value_kind:     by_value
      - .offset:         336
        .size:           4
        .value_kind:     hidden_block_count_x
      - .offset:         340
        .size:           4
        .value_kind:     hidden_block_count_y
      - .offset:         344
        .size:           4
        .value_kind:     hidden_block_count_z
      - .offset:         348
        .size:           2
        .value_kind:     hidden_group_size_x
      - .offset:         350
        .size:           2
        .value_kind:     hidden_group_size_y
      - .offset:         352
        .size:           2
        .value_kind:     hidden_group_size_z
      - .offset:         354
        .size:           2
        .value_kind:     hidden_remainder_x
      - .offset:         356
        .size:           2
        .value_kind:     hidden_remainder_y
      - .offset:         358
        .size:           2
        .value_kind:     hidden_remainder_z
      - .offset:         376
        .size:           8
        .value_kind:     hidden_global_offset_x
      - .offset:         384
        .size:           8
        .value_kind:     hidden_global_offset_y
      - .offset:         392
        .size:           8
        .value_kind:     hidden_global_offset_z
      - .offset:         400
        .size:           2
        .value_kind:     hidden_grid_dims
    .group_segment_fixed_size: 0
    .kernarg_segment_align: 8
    .kernarg_segment_size: 592
    .language:       OpenCL C
    .language_version:
      - 2
      - 0
    .max_flat_workgroup_size: 256
    .name:           _ZN2at6native12_GLOBAL__N_143distribution_elementwise_grid_stride_kernelIdLi2EZNS0_9templates4cuda20normal_and_transformIddPNS_17CUDAGeneratorImplEZZZNS4_17log_normal_kernelIS7_EEvRNS_18TensorIteratorBaseEddT_ENKUlvE_clEvENKUlvE_clEvEUldE_EEvSA_T1_T2_EUlP25hiprandStatePhilox4_32_10E_ZNS1_27distribution_nullary_kernelIdd15HIP_vector_typeIdLj2EES7_SJ_SE_EEvSA_SG_RKT3_T4_EUlidE0_EEvlNS_15PhiloxCudaStateESF_SG_
    .private_segment_fixed_size: 0
    .sgpr_count:     107
    .sgpr_spill_count: 6
    .symbol:         _ZN2at6native12_GLOBAL__N_143distribution_elementwise_grid_stride_kernelIdLi2EZNS0_9templates4cuda20normal_and_transformIddPNS_17CUDAGeneratorImplEZZZNS4_17log_normal_kernelIS7_EEvRNS_18TensorIteratorBaseEddT_ENKUlvE_clEvENKUlvE_clEvEUldE_EEvSA_T1_T2_EUlP25hiprandStatePhilox4_32_10E_ZNS1_27distribution_nullary_kernelIdd15HIP_vector_typeIdLj2EES7_SJ_SE_EEvSA_SG_RKT3_T4_EUlidE0_EEvlNS_15PhiloxCudaStateESF_SG_.kd
    .uniform_work_group_size: 1
    .uses_dynamic_stack: false
    .vgpr_count:     53
    .vgpr_spill_count: 0
    .wavefront_size: 32
    .workgroup_processor_mode: 1
  - .args:
      - .offset:         0
        .size:           8
        .value_kind:     by_value
      - .offset:         8
        .size:           32
        .value_kind:     by_value
      - .offset:         40
        .size:           1
        .value_kind:     by_value
      - .offset:         48
        .size:           32
        .value_kind:     by_value
      - .offset:         80
        .size:           4
        .value_kind:     hidden_block_count_x
      - .offset:         84
        .size:           4
        .value_kind:     hidden_block_count_y
      - .offset:         88
        .size:           4
        .value_kind:     hidden_block_count_z
      - .offset:         92
        .size:           2
        .value_kind:     hidden_group_size_x
      - .offset:         94
        .size:           2
        .value_kind:     hidden_group_size_y
      - .offset:         96
        .size:           2
        .value_kind:     hidden_group_size_z
      - .offset:         98
        .size:           2
        .value_kind:     hidden_remainder_x
      - .offset:         100
        .size:           2
        .value_kind:     hidden_remainder_y
      - .offset:         102
        .size:           2
        .value_kind:     hidden_remainder_z
      - .offset:         120
        .size:           8
        .value_kind:     hidden_global_offset_x
      - .offset:         128
        .size:           8
        .value_kind:     hidden_global_offset_y
      - .offset:         136
        .size:           8
        .value_kind:     hidden_global_offset_z
      - .offset:         144
        .size:           2
        .value_kind:     hidden_grid_dims
    .group_segment_fixed_size: 0
    .kernarg_segment_align: 8
    .kernarg_segment_size: 336
    .language:       OpenCL C
    .language_version:
      - 2
      - 0
    .max_flat_workgroup_size: 256
    .name:           _ZN2at6native12_GLOBAL__N_143distribution_elementwise_grid_stride_kernelIdLi2EZNS0_9templates4cuda20normal_and_transformIddPNS_17CUDAGeneratorImplEZZZNS4_17log_normal_kernelIS7_EEvRNS_18TensorIteratorBaseEddT_ENKUlvE_clEvENKUlvE_clEvEUldE_EEvSA_T1_T2_EUlP25hiprandStatePhilox4_32_10E0_ZNS1_27distribution_nullary_kernelIdd15HIP_vector_typeIfLj4EES7_SJ_SE_EEvSA_SG_RKT3_T4_EUlidE_EEvlNS_15PhiloxCudaStateESF_SG_
    .private_segment_fixed_size: 0
    .sgpr_count:     47
    .sgpr_spill_count: 0
    .symbol:         _ZN2at6native12_GLOBAL__N_143distribution_elementwise_grid_stride_kernelIdLi2EZNS0_9templates4cuda20normal_and_transformIddPNS_17CUDAGeneratorImplEZZZNS4_17log_normal_kernelIS7_EEvRNS_18TensorIteratorBaseEddT_ENKUlvE_clEvENKUlvE_clEvEUldE_EEvSA_T1_T2_EUlP25hiprandStatePhilox4_32_10E0_ZNS1_27distribution_nullary_kernelIdd15HIP_vector_typeIfLj4EES7_SJ_SE_EEvSA_SG_RKT3_T4_EUlidE_EEvlNS_15PhiloxCudaStateESF_SG_.kd
    .uniform_work_group_size: 1
    .uses_dynamic_stack: false
    .vgpr_count:     44
    .vgpr_spill_count: 0
    .wavefront_size: 32
    .workgroup_processor_mode: 1
  - .args:
      - .offset:         0
        .size:           8
        .value_kind:     by_value
      - .offset:         8
        .size:           32
        .value_kind:     by_value
      - .offset:         40
        .size:           1
        .value_kind:     by_value
      - .offset:         48
        .size:           288
        .value_kind:     by_value
      - .offset:         336
        .size:           4
        .value_kind:     hidden_block_count_x
      - .offset:         340
        .size:           4
        .value_kind:     hidden_block_count_y
      - .offset:         344
        .size:           4
        .value_kind:     hidden_block_count_z
      - .offset:         348
        .size:           2
        .value_kind:     hidden_group_size_x
      - .offset:         350
        .size:           2
        .value_kind:     hidden_group_size_y
      - .offset:         352
        .size:           2
        .value_kind:     hidden_group_size_z
      - .offset:         354
        .size:           2
        .value_kind:     hidden_remainder_x
      - .offset:         356
        .size:           2
        .value_kind:     hidden_remainder_y
      - .offset:         358
        .size:           2
        .value_kind:     hidden_remainder_z
      - .offset:         376
        .size:           8
        .value_kind:     hidden_global_offset_x
      - .offset:         384
        .size:           8
        .value_kind:     hidden_global_offset_y
      - .offset:         392
        .size:           8
        .value_kind:     hidden_global_offset_z
      - .offset:         400
        .size:           2
        .value_kind:     hidden_grid_dims
    .group_segment_fixed_size: 0
    .kernarg_segment_align: 8
    .kernarg_segment_size: 592
    .language:       OpenCL C
    .language_version:
      - 2
      - 0
    .max_flat_workgroup_size: 256
    .name:           _ZN2at6native12_GLOBAL__N_143distribution_elementwise_grid_stride_kernelIdLi2EZNS0_9templates4cuda20normal_and_transformIddPNS_17CUDAGeneratorImplEZZZNS4_17log_normal_kernelIS7_EEvRNS_18TensorIteratorBaseEddT_ENKUlvE_clEvENKUlvE_clEvEUldE_EEvSA_T1_T2_EUlP25hiprandStatePhilox4_32_10E0_ZNS1_27distribution_nullary_kernelIdd15HIP_vector_typeIfLj4EES7_SJ_SE_EEvSA_SG_RKT3_T4_EUlidE0_EEvlNS_15PhiloxCudaStateESF_SG_
    .private_segment_fixed_size: 0
    .sgpr_count:     86
    .sgpr_spill_count: 0
    .symbol:         _ZN2at6native12_GLOBAL__N_143distribution_elementwise_grid_stride_kernelIdLi2EZNS0_9templates4cuda20normal_and_transformIddPNS_17CUDAGeneratorImplEZZZNS4_17log_normal_kernelIS7_EEvRNS_18TensorIteratorBaseEddT_ENKUlvE_clEvENKUlvE_clEvEUldE_EEvSA_T1_T2_EUlP25hiprandStatePhilox4_32_10E0_ZNS1_27distribution_nullary_kernelIdd15HIP_vector_typeIfLj4EES7_SJ_SE_EEvSA_SG_RKT3_T4_EUlidE0_EEvlNS_15PhiloxCudaStateESF_SG_.kd
    .uniform_work_group_size: 1
    .uses_dynamic_stack: false
    .vgpr_count:     43
    .vgpr_spill_count: 0
    .wavefront_size: 32
    .workgroup_processor_mode: 1
  - .args:
      - .offset:         0
        .size:           8
        .value_kind:     by_value
      - .offset:         8
        .size:           32
        .value_kind:     by_value
      - .offset:         40
        .size:           1
        .value_kind:     by_value
      - .offset:         48
        .size:           24
        .value_kind:     by_value
      - .offset:         72
        .size:           4
        .value_kind:     hidden_block_count_x
      - .offset:         76
        .size:           4
        .value_kind:     hidden_block_count_y
      - .offset:         80
        .size:           4
        .value_kind:     hidden_block_count_z
      - .offset:         84
        .size:           2
        .value_kind:     hidden_group_size_x
      - .offset:         86
        .size:           2
        .value_kind:     hidden_group_size_y
      - .offset:         88
        .size:           2
        .value_kind:     hidden_group_size_z
      - .offset:         90
        .size:           2
        .value_kind:     hidden_remainder_x
      - .offset:         92
        .size:           2
        .value_kind:     hidden_remainder_y
      - .offset:         94
        .size:           2
        .value_kind:     hidden_remainder_z
      - .offset:         112
        .size:           8
        .value_kind:     hidden_global_offset_x
      - .offset:         120
        .size:           8
        .value_kind:     hidden_global_offset_y
      - .offset:         128
        .size:           8
        .value_kind:     hidden_global_offset_z
      - .offset:         136
        .size:           2
        .value_kind:     hidden_grid_dims
    .group_segment_fixed_size: 0
    .kernarg_segment_align: 8
    .kernarg_segment_size: 328
    .language:       OpenCL C
    .language_version:
      - 2
      - 0
    .max_flat_workgroup_size: 256
    .name:           _ZN2at6native12_GLOBAL__N_143distribution_elementwise_grid_stride_kernelIfLi4EZNS0_9templates4cuda20normal_and_transformIffPNS_17CUDAGeneratorImplEZZZNS4_17log_normal_kernelIS7_EEvRNS_18TensorIteratorBaseEddT_ENKUlvE_clEvENKUlvE0_clEvEUlfE_EEvSA_T1_T2_EUlP25hiprandStatePhilox4_32_10E_ZNS1_27distribution_nullary_kernelIff15HIP_vector_typeIdLj2EES7_SJ_SE_EEvSA_SG_RKT3_T4_EUlifE_EEvlNS_15PhiloxCudaStateESF_SG_
    .private_segment_fixed_size: 0
    .sgpr_count:     68
    .sgpr_spill_count: 0
    .symbol:         _ZN2at6native12_GLOBAL__N_143distribution_elementwise_grid_stride_kernelIfLi4EZNS0_9templates4cuda20normal_and_transformIffPNS_17CUDAGeneratorImplEZZZNS4_17log_normal_kernelIS7_EEvRNS_18TensorIteratorBaseEddT_ENKUlvE_clEvENKUlvE0_clEvEUlfE_EEvSA_T1_T2_EUlP25hiprandStatePhilox4_32_10E_ZNS1_27distribution_nullary_kernelIff15HIP_vector_typeIdLj2EES7_SJ_SE_EEvSA_SG_RKT3_T4_EUlifE_EEvlNS_15PhiloxCudaStateESF_SG_.kd
    .uniform_work_group_size: 1
    .uses_dynamic_stack: false
    .vgpr_count:     61
    .vgpr_spill_count: 0
    .wavefront_size: 32
    .workgroup_processor_mode: 1
  - .args:
      - .offset:         0
        .size:           8
        .value_kind:     by_value
      - .offset:         8
        .size:           32
        .value_kind:     by_value
      - .offset:         40
        .size:           1
        .value_kind:     by_value
      - .offset:         48
        .size:           280
        .value_kind:     by_value
      - .offset:         328
        .size:           4
        .value_kind:     hidden_block_count_x
      - .offset:         332
        .size:           4
        .value_kind:     hidden_block_count_y
      - .offset:         336
        .size:           4
        .value_kind:     hidden_block_count_z
      - .offset:         340
        .size:           2
        .value_kind:     hidden_group_size_x
      - .offset:         342
        .size:           2
        .value_kind:     hidden_group_size_y
      - .offset:         344
        .size:           2
        .value_kind:     hidden_group_size_z
      - .offset:         346
        .size:           2
        .value_kind:     hidden_remainder_x
      - .offset:         348
        .size:           2
        .value_kind:     hidden_remainder_y
      - .offset:         350
        .size:           2
        .value_kind:     hidden_remainder_z
      - .offset:         368
        .size:           8
        .value_kind:     hidden_global_offset_x
      - .offset:         376
        .size:           8
        .value_kind:     hidden_global_offset_y
      - .offset:         384
        .size:           8
        .value_kind:     hidden_global_offset_z
      - .offset:         392
        .size:           2
        .value_kind:     hidden_grid_dims
    .group_segment_fixed_size: 0
    .kernarg_segment_align: 8
    .kernarg_segment_size: 584
    .language:       OpenCL C
    .language_version:
      - 2
      - 0
    .max_flat_workgroup_size: 256
    .name:           _ZN2at6native12_GLOBAL__N_143distribution_elementwise_grid_stride_kernelIfLi4EZNS0_9templates4cuda20normal_and_transformIffPNS_17CUDAGeneratorImplEZZZNS4_17log_normal_kernelIS7_EEvRNS_18TensorIteratorBaseEddT_ENKUlvE_clEvENKUlvE0_clEvEUlfE_EEvSA_T1_T2_EUlP25hiprandStatePhilox4_32_10E_ZNS1_27distribution_nullary_kernelIff15HIP_vector_typeIdLj2EES7_SJ_SE_EEvSA_SG_RKT3_T4_EUlifE0_EEvlNS_15PhiloxCudaStateESF_SG_
    .private_segment_fixed_size: 0
    .sgpr_count:     106
    .sgpr_spill_count: 0
    .symbol:         _ZN2at6native12_GLOBAL__N_143distribution_elementwise_grid_stride_kernelIfLi4EZNS0_9templates4cuda20normal_and_transformIffPNS_17CUDAGeneratorImplEZZZNS4_17log_normal_kernelIS7_EEvRNS_18TensorIteratorBaseEddT_ENKUlvE_clEvENKUlvE0_clEvEUlfE_EEvSA_T1_T2_EUlP25hiprandStatePhilox4_32_10E_ZNS1_27distribution_nullary_kernelIff15HIP_vector_typeIdLj2EES7_SJ_SE_EEvSA_SG_RKT3_T4_EUlifE0_EEvlNS_15PhiloxCudaStateESF_SG_.kd
    .uniform_work_group_size: 1
    .uses_dynamic_stack: false
    .vgpr_count:     58
    .vgpr_spill_count: 0
    .wavefront_size: 32
    .workgroup_processor_mode: 1
  - .args:
      - .offset:         0
        .size:           8
        .value_kind:     by_value
      - .offset:         8
        .size:           32
        .value_kind:     by_value
      - .offset:         40
        .size:           1
        .value_kind:     by_value
      - .offset:         48
        .size:           24
        .value_kind:     by_value
      - .offset:         72
        .size:           4
        .value_kind:     hidden_block_count_x
      - .offset:         76
        .size:           4
        .value_kind:     hidden_block_count_y
      - .offset:         80
        .size:           4
        .value_kind:     hidden_block_count_z
      - .offset:         84
        .size:           2
        .value_kind:     hidden_group_size_x
      - .offset:         86
        .size:           2
        .value_kind:     hidden_group_size_y
      - .offset:         88
        .size:           2
        .value_kind:     hidden_group_size_z
      - .offset:         90
        .size:           2
        .value_kind:     hidden_remainder_x
      - .offset:         92
        .size:           2
        .value_kind:     hidden_remainder_y
      - .offset:         94
        .size:           2
        .value_kind:     hidden_remainder_z
      - .offset:         112
        .size:           8
        .value_kind:     hidden_global_offset_x
      - .offset:         120
        .size:           8
        .value_kind:     hidden_global_offset_y
      - .offset:         128
        .size:           8
        .value_kind:     hidden_global_offset_z
      - .offset:         136
        .size:           2
        .value_kind:     hidden_grid_dims
    .group_segment_fixed_size: 0
    .kernarg_segment_align: 8
    .kernarg_segment_size: 328
    .language:       OpenCL C
    .language_version:
      - 2
      - 0
    .max_flat_workgroup_size: 256
    .name:           _ZN2at6native12_GLOBAL__N_143distribution_elementwise_grid_stride_kernelIfLi4EZNS0_9templates4cuda20normal_and_transformIffPNS_17CUDAGeneratorImplEZZZNS4_17log_normal_kernelIS7_EEvRNS_18TensorIteratorBaseEddT_ENKUlvE_clEvENKUlvE0_clEvEUlfE_EEvSA_T1_T2_EUlP25hiprandStatePhilox4_32_10E0_ZNS1_27distribution_nullary_kernelIff15HIP_vector_typeIfLj4EES7_SJ_SE_EEvSA_SG_RKT3_T4_EUlifE_EEvlNS_15PhiloxCudaStateESF_SG_
    .private_segment_fixed_size: 0
    .sgpr_count:     25
    .sgpr_spill_count: 0
    .symbol:         _ZN2at6native12_GLOBAL__N_143distribution_elementwise_grid_stride_kernelIfLi4EZNS0_9templates4cuda20normal_and_transformIffPNS_17CUDAGeneratorImplEZZZNS4_17log_normal_kernelIS7_EEvRNS_18TensorIteratorBaseEddT_ENKUlvE_clEvENKUlvE0_clEvEUlfE_EEvSA_T1_T2_EUlP25hiprandStatePhilox4_32_10E0_ZNS1_27distribution_nullary_kernelIff15HIP_vector_typeIfLj4EES7_SJ_SE_EEvSA_SG_RKT3_T4_EUlifE_EEvlNS_15PhiloxCudaStateESF_SG_.kd
    .uniform_work_group_size: 1
    .uses_dynamic_stack: false
    .vgpr_count:     46
    .vgpr_spill_count: 0
    .wavefront_size: 32
    .workgroup_processor_mode: 1
  - .args:
      - .offset:         0
        .size:           8
        .value_kind:     by_value
      - .offset:         8
        .size:           32
        .value_kind:     by_value
      - .offset:         40
        .size:           1
        .value_kind:     by_value
      - .offset:         48
        .size:           280
        .value_kind:     by_value
      - .offset:         328
        .size:           4
        .value_kind:     hidden_block_count_x
      - .offset:         332
        .size:           4
        .value_kind:     hidden_block_count_y
      - .offset:         336
        .size:           4
        .value_kind:     hidden_block_count_z
      - .offset:         340
        .size:           2
        .value_kind:     hidden_group_size_x
      - .offset:         342
        .size:           2
        .value_kind:     hidden_group_size_y
      - .offset:         344
        .size:           2
        .value_kind:     hidden_group_size_z
      - .offset:         346
        .size:           2
        .value_kind:     hidden_remainder_x
      - .offset:         348
        .size:           2
        .value_kind:     hidden_remainder_y
      - .offset:         350
        .size:           2
        .value_kind:     hidden_remainder_z
      - .offset:         368
        .size:           8
        .value_kind:     hidden_global_offset_x
      - .offset:         376
        .size:           8
        .value_kind:     hidden_global_offset_y
      - .offset:         384
        .size:           8
        .value_kind:     hidden_global_offset_z
      - .offset:         392
        .size:           2
        .value_kind:     hidden_grid_dims
    .group_segment_fixed_size: 0
    .kernarg_segment_align: 8
    .kernarg_segment_size: 584
    .language:       OpenCL C
    .language_version:
      - 2
      - 0
    .max_flat_workgroup_size: 256
    .name:           _ZN2at6native12_GLOBAL__N_143distribution_elementwise_grid_stride_kernelIfLi4EZNS0_9templates4cuda20normal_and_transformIffPNS_17CUDAGeneratorImplEZZZNS4_17log_normal_kernelIS7_EEvRNS_18TensorIteratorBaseEddT_ENKUlvE_clEvENKUlvE0_clEvEUlfE_EEvSA_T1_T2_EUlP25hiprandStatePhilox4_32_10E0_ZNS1_27distribution_nullary_kernelIff15HIP_vector_typeIfLj4EES7_SJ_SE_EEvSA_SG_RKT3_T4_EUlifE0_EEvlNS_15PhiloxCudaStateESF_SG_
    .private_segment_fixed_size: 0
    .sgpr_count:     58
    .sgpr_spill_count: 0
    .symbol:         _ZN2at6native12_GLOBAL__N_143distribution_elementwise_grid_stride_kernelIfLi4EZNS0_9templates4cuda20normal_and_transformIffPNS_17CUDAGeneratorImplEZZZNS4_17log_normal_kernelIS7_EEvRNS_18TensorIteratorBaseEddT_ENKUlvE_clEvENKUlvE0_clEvEUlfE_EEvSA_T1_T2_EUlP25hiprandStatePhilox4_32_10E0_ZNS1_27distribution_nullary_kernelIff15HIP_vector_typeIfLj4EES7_SJ_SE_EEvSA_SG_RKT3_T4_EUlifE0_EEvlNS_15PhiloxCudaStateESF_SG_.kd
    .uniform_work_group_size: 1
    .uses_dynamic_stack: false
    .vgpr_count:     45
    .vgpr_spill_count: 0
    .wavefront_size: 32
    .workgroup_processor_mode: 1
  - .args:
      - .offset:         0
        .size:           8
        .value_kind:     by_value
      - .offset:         8
        .size:           32
        .value_kind:     by_value
      - .offset:         40
        .size:           1
        .value_kind:     by_value
      - .offset:         48
        .size:           24
        .value_kind:     by_value
      - .offset:         72
        .size:           4
        .value_kind:     hidden_block_count_x
      - .offset:         76
        .size:           4
        .value_kind:     hidden_block_count_y
      - .offset:         80
        .size:           4
        .value_kind:     hidden_block_count_z
      - .offset:         84
        .size:           2
        .value_kind:     hidden_group_size_x
      - .offset:         86
        .size:           2
        .value_kind:     hidden_group_size_y
      - .offset:         88
        .size:           2
        .value_kind:     hidden_group_size_z
      - .offset:         90
        .size:           2
        .value_kind:     hidden_remainder_x
      - .offset:         92
        .size:           2
        .value_kind:     hidden_remainder_y
      - .offset:         94
        .size:           2
        .value_kind:     hidden_remainder_z
      - .offset:         112
        .size:           8
        .value_kind:     hidden_global_offset_x
      - .offset:         120
        .size:           8
        .value_kind:     hidden_global_offset_y
      - .offset:         128
        .size:           8
        .value_kind:     hidden_global_offset_z
      - .offset:         136
        .size:           2
        .value_kind:     hidden_grid_dims
    .group_segment_fixed_size: 0
    .kernarg_segment_align: 8
    .kernarg_segment_size: 328
    .language:       OpenCL C
    .language_version:
      - 2
      - 0
    .max_flat_workgroup_size: 256
    .name:           _ZN2at6native12_GLOBAL__N_143distribution_elementwise_grid_stride_kernelIfLi4EZNS0_9templates4cuda20normal_and_transformIN3c104HalfEfPNS_17CUDAGeneratorImplEZZZNS4_17log_normal_kernelIS9_EEvRNS_18TensorIteratorBaseEddT_ENKUlvE_clEvENKUlvE1_clEvEUlfE_EEvSC_T1_T2_EUlP25hiprandStatePhilox4_32_10E_ZNS1_27distribution_nullary_kernelIS7_f15HIP_vector_typeIdLj2EES9_SL_SG_EEvSC_SI_RKT3_T4_EUlifE_EEvlNS_15PhiloxCudaStateESH_SI_
    .private_segment_fixed_size: 0
    .sgpr_count:     68
    .sgpr_spill_count: 0
    .symbol:         _ZN2at6native12_GLOBAL__N_143distribution_elementwise_grid_stride_kernelIfLi4EZNS0_9templates4cuda20normal_and_transformIN3c104HalfEfPNS_17CUDAGeneratorImplEZZZNS4_17log_normal_kernelIS9_EEvRNS_18TensorIteratorBaseEddT_ENKUlvE_clEvENKUlvE1_clEvEUlfE_EEvSC_T1_T2_EUlP25hiprandStatePhilox4_32_10E_ZNS1_27distribution_nullary_kernelIS7_f15HIP_vector_typeIdLj2EES9_SL_SG_EEvSC_SI_RKT3_T4_EUlifE_EEvlNS_15PhiloxCudaStateESH_SI_.kd
    .uniform_work_group_size: 1
    .uses_dynamic_stack: false
    .vgpr_count:     61
    .vgpr_spill_count: 0
    .wavefront_size: 32
    .workgroup_processor_mode: 1
  - .args:
      - .offset:         0
        .size:           8
        .value_kind:     by_value
      - .offset:         8
        .size:           32
        .value_kind:     by_value
      - .offset:         40
        .size:           1
        .value_kind:     by_value
      - .offset:         48
        .size:           280
        .value_kind:     by_value
      - .offset:         328
        .size:           4
        .value_kind:     hidden_block_count_x
      - .offset:         332
        .size:           4
        .value_kind:     hidden_block_count_y
      - .offset:         336
        .size:           4
        .value_kind:     hidden_block_count_z
      - .offset:         340
        .size:           2
        .value_kind:     hidden_group_size_x
      - .offset:         342
        .size:           2
        .value_kind:     hidden_group_size_y
      - .offset:         344
        .size:           2
        .value_kind:     hidden_group_size_z
      - .offset:         346
        .size:           2
        .value_kind:     hidden_remainder_x
      - .offset:         348
        .size:           2
        .value_kind:     hidden_remainder_y
      - .offset:         350
        .size:           2
        .value_kind:     hidden_remainder_z
      - .offset:         368
        .size:           8
        .value_kind:     hidden_global_offset_x
      - .offset:         376
        .size:           8
        .value_kind:     hidden_global_offset_y
      - .offset:         384
        .size:           8
        .value_kind:     hidden_global_offset_z
      - .offset:         392
        .size:           2
        .value_kind:     hidden_grid_dims
    .group_segment_fixed_size: 0
    .kernarg_segment_align: 8
    .kernarg_segment_size: 584
    .language:       OpenCL C
    .language_version:
      - 2
      - 0
    .max_flat_workgroup_size: 256
    .name:           _ZN2at6native12_GLOBAL__N_143distribution_elementwise_grid_stride_kernelIfLi4EZNS0_9templates4cuda20normal_and_transformIN3c104HalfEfPNS_17CUDAGeneratorImplEZZZNS4_17log_normal_kernelIS9_EEvRNS_18TensorIteratorBaseEddT_ENKUlvE_clEvENKUlvE1_clEvEUlfE_EEvSC_T1_T2_EUlP25hiprandStatePhilox4_32_10E_ZNS1_27distribution_nullary_kernelIS7_f15HIP_vector_typeIdLj2EES9_SL_SG_EEvSC_SI_RKT3_T4_EUlifE0_EEvlNS_15PhiloxCudaStateESH_SI_
    .private_segment_fixed_size: 0
    .sgpr_count:     106
    .sgpr_spill_count: 0
    .symbol:         _ZN2at6native12_GLOBAL__N_143distribution_elementwise_grid_stride_kernelIfLi4EZNS0_9templates4cuda20normal_and_transformIN3c104HalfEfPNS_17CUDAGeneratorImplEZZZNS4_17log_normal_kernelIS9_EEvRNS_18TensorIteratorBaseEddT_ENKUlvE_clEvENKUlvE1_clEvEUlfE_EEvSC_T1_T2_EUlP25hiprandStatePhilox4_32_10E_ZNS1_27distribution_nullary_kernelIS7_f15HIP_vector_typeIdLj2EES9_SL_SG_EEvSC_SI_RKT3_T4_EUlifE0_EEvlNS_15PhiloxCudaStateESH_SI_.kd
    .uniform_work_group_size: 1
    .uses_dynamic_stack: false
    .vgpr_count:     58
    .vgpr_spill_count: 0
    .wavefront_size: 32
    .workgroup_processor_mode: 1
  - .args:
      - .offset:         0
        .size:           8
        .value_kind:     by_value
      - .offset:         8
        .size:           32
        .value_kind:     by_value
      - .offset:         40
        .size:           1
        .value_kind:     by_value
      - .offset:         48
        .size:           24
        .value_kind:     by_value
      - .offset:         72
        .size:           4
        .value_kind:     hidden_block_count_x
      - .offset:         76
        .size:           4
        .value_kind:     hidden_block_count_y
      - .offset:         80
        .size:           4
        .value_kind:     hidden_block_count_z
      - .offset:         84
        .size:           2
        .value_kind:     hidden_group_size_x
      - .offset:         86
        .size:           2
        .value_kind:     hidden_group_size_y
      - .offset:         88
        .size:           2
        .value_kind:     hidden_group_size_z
      - .offset:         90
        .size:           2
        .value_kind:     hidden_remainder_x
      - .offset:         92
        .size:           2
        .value_kind:     hidden_remainder_y
      - .offset:         94
        .size:           2
        .value_kind:     hidden_remainder_z
      - .offset:         112
        .size:           8
        .value_kind:     hidden_global_offset_x
      - .offset:         120
        .size:           8
        .value_kind:     hidden_global_offset_y
      - .offset:         128
        .size:           8
        .value_kind:     hidden_global_offset_z
      - .offset:         136
        .size:           2
        .value_kind:     hidden_grid_dims
    .group_segment_fixed_size: 0
    .kernarg_segment_align: 8
    .kernarg_segment_size: 328
    .language:       OpenCL C
    .language_version:
      - 2
      - 0
    .max_flat_workgroup_size: 256
    .name:           _ZN2at6native12_GLOBAL__N_143distribution_elementwise_grid_stride_kernelIfLi4EZNS0_9templates4cuda20normal_and_transformIN3c104HalfEfPNS_17CUDAGeneratorImplEZZZNS4_17log_normal_kernelIS9_EEvRNS_18TensorIteratorBaseEddT_ENKUlvE_clEvENKUlvE1_clEvEUlfE_EEvSC_T1_T2_EUlP25hiprandStatePhilox4_32_10E0_ZNS1_27distribution_nullary_kernelIS7_f15HIP_vector_typeIfLj4EES9_SL_SG_EEvSC_SI_RKT3_T4_EUlifE_EEvlNS_15PhiloxCudaStateESH_SI_
    .private_segment_fixed_size: 0
    .sgpr_count:     25
    .sgpr_spill_count: 0
    .symbol:         _ZN2at6native12_GLOBAL__N_143distribution_elementwise_grid_stride_kernelIfLi4EZNS0_9templates4cuda20normal_and_transformIN3c104HalfEfPNS_17CUDAGeneratorImplEZZZNS4_17log_normal_kernelIS9_EEvRNS_18TensorIteratorBaseEddT_ENKUlvE_clEvENKUlvE1_clEvEUlfE_EEvSC_T1_T2_EUlP25hiprandStatePhilox4_32_10E0_ZNS1_27distribution_nullary_kernelIS7_f15HIP_vector_typeIfLj4EES9_SL_SG_EEvSC_SI_RKT3_T4_EUlifE_EEvlNS_15PhiloxCudaStateESH_SI_.kd
    .uniform_work_group_size: 1
    .uses_dynamic_stack: false
    .vgpr_count:     46
    .vgpr_spill_count: 0
    .wavefront_size: 32
    .workgroup_processor_mode: 1
  - .args:
      - .offset:         0
        .size:           8
        .value_kind:     by_value
      - .offset:         8
        .size:           32
        .value_kind:     by_value
      - .offset:         40
        .size:           1
        .value_kind:     by_value
      - .offset:         48
        .size:           280
        .value_kind:     by_value
      - .offset:         328
        .size:           4
        .value_kind:     hidden_block_count_x
      - .offset:         332
        .size:           4
        .value_kind:     hidden_block_count_y
      - .offset:         336
        .size:           4
        .value_kind:     hidden_block_count_z
      - .offset:         340
        .size:           2
        .value_kind:     hidden_group_size_x
      - .offset:         342
        .size:           2
        .value_kind:     hidden_group_size_y
      - .offset:         344
        .size:           2
        .value_kind:     hidden_group_size_z
      - .offset:         346
        .size:           2
        .value_kind:     hidden_remainder_x
      - .offset:         348
        .size:           2
        .value_kind:     hidden_remainder_y
      - .offset:         350
        .size:           2
        .value_kind:     hidden_remainder_z
      - .offset:         368
        .size:           8
        .value_kind:     hidden_global_offset_x
      - .offset:         376
        .size:           8
        .value_kind:     hidden_global_offset_y
      - .offset:         384
        .size:           8
        .value_kind:     hidden_global_offset_z
      - .offset:         392
        .size:           2
        .value_kind:     hidden_grid_dims
    .group_segment_fixed_size: 0
    .kernarg_segment_align: 8
    .kernarg_segment_size: 584
    .language:       OpenCL C
    .language_version:
      - 2
      - 0
    .max_flat_workgroup_size: 256
    .name:           _ZN2at6native12_GLOBAL__N_143distribution_elementwise_grid_stride_kernelIfLi4EZNS0_9templates4cuda20normal_and_transformIN3c104HalfEfPNS_17CUDAGeneratorImplEZZZNS4_17log_normal_kernelIS9_EEvRNS_18TensorIteratorBaseEddT_ENKUlvE_clEvENKUlvE1_clEvEUlfE_EEvSC_T1_T2_EUlP25hiprandStatePhilox4_32_10E0_ZNS1_27distribution_nullary_kernelIS7_f15HIP_vector_typeIfLj4EES9_SL_SG_EEvSC_SI_RKT3_T4_EUlifE0_EEvlNS_15PhiloxCudaStateESH_SI_
    .private_segment_fixed_size: 0
    .sgpr_count:     58
    .sgpr_spill_count: 0
    .symbol:         _ZN2at6native12_GLOBAL__N_143distribution_elementwise_grid_stride_kernelIfLi4EZNS0_9templates4cuda20normal_and_transformIN3c104HalfEfPNS_17CUDAGeneratorImplEZZZNS4_17log_normal_kernelIS9_EEvRNS_18TensorIteratorBaseEddT_ENKUlvE_clEvENKUlvE1_clEvEUlfE_EEvSC_T1_T2_EUlP25hiprandStatePhilox4_32_10E0_ZNS1_27distribution_nullary_kernelIS7_f15HIP_vector_typeIfLj4EES9_SL_SG_EEvSC_SI_RKT3_T4_EUlifE0_EEvlNS_15PhiloxCudaStateESH_SI_.kd
    .uniform_work_group_size: 1
    .uses_dynamic_stack: false
    .vgpr_count:     45
    .vgpr_spill_count: 0
    .wavefront_size: 32
    .workgroup_processor_mode: 1
  - .args:
      - .offset:         0
        .size:           8
        .value_kind:     by_value
      - .offset:         8
        .size:           32
        .value_kind:     by_value
      - .offset:         40
        .size:           1
        .value_kind:     by_value
      - .offset:         48
        .size:           24
        .value_kind:     by_value
      - .offset:         72
        .size:           4
        .value_kind:     hidden_block_count_x
      - .offset:         76
        .size:           4
        .value_kind:     hidden_block_count_y
      - .offset:         80
        .size:           4
        .value_kind:     hidden_block_count_z
      - .offset:         84
        .size:           2
        .value_kind:     hidden_group_size_x
      - .offset:         86
        .size:           2
        .value_kind:     hidden_group_size_y
      - .offset:         88
        .size:           2
        .value_kind:     hidden_group_size_z
      - .offset:         90
        .size:           2
        .value_kind:     hidden_remainder_x
      - .offset:         92
        .size:           2
        .value_kind:     hidden_remainder_y
      - .offset:         94
        .size:           2
        .value_kind:     hidden_remainder_z
      - .offset:         112
        .size:           8
        .value_kind:     hidden_global_offset_x
      - .offset:         120
        .size:           8
        .value_kind:     hidden_global_offset_y
      - .offset:         128
        .size:           8
        .value_kind:     hidden_global_offset_z
      - .offset:         136
        .size:           2
        .value_kind:     hidden_grid_dims
    .group_segment_fixed_size: 0
    .kernarg_segment_align: 8
    .kernarg_segment_size: 328
    .language:       OpenCL C
    .language_version:
      - 2
      - 0
    .max_flat_workgroup_size: 256
    .name:           _ZN2at6native12_GLOBAL__N_143distribution_elementwise_grid_stride_kernelIfLi4EZNS0_9templates4cuda20normal_and_transformIN3c108BFloat16EfPNS_17CUDAGeneratorImplEZZZNS4_17log_normal_kernelIS9_EEvRNS_18TensorIteratorBaseEddT_ENKUlvE_clEvENKUlvE2_clEvEUlfE_EEvSC_T1_T2_EUlP25hiprandStatePhilox4_32_10E_ZNS1_27distribution_nullary_kernelIS7_f15HIP_vector_typeIdLj2EES9_SL_SG_EEvSC_SI_RKT3_T4_EUlifE_EEvlNS_15PhiloxCudaStateESH_SI_
    .private_segment_fixed_size: 0
    .sgpr_count:     68
    .sgpr_spill_count: 0
    .symbol:         _ZN2at6native12_GLOBAL__N_143distribution_elementwise_grid_stride_kernelIfLi4EZNS0_9templates4cuda20normal_and_transformIN3c108BFloat16EfPNS_17CUDAGeneratorImplEZZZNS4_17log_normal_kernelIS9_EEvRNS_18TensorIteratorBaseEddT_ENKUlvE_clEvENKUlvE2_clEvEUlfE_EEvSC_T1_T2_EUlP25hiprandStatePhilox4_32_10E_ZNS1_27distribution_nullary_kernelIS7_f15HIP_vector_typeIdLj2EES9_SL_SG_EEvSC_SI_RKT3_T4_EUlifE_EEvlNS_15PhiloxCudaStateESH_SI_.kd
    .uniform_work_group_size: 1
    .uses_dynamic_stack: false
    .vgpr_count:     61
    .vgpr_spill_count: 0
    .wavefront_size: 32
    .workgroup_processor_mode: 1
  - .args:
      - .offset:         0
        .size:           8
        .value_kind:     by_value
      - .offset:         8
        .size:           32
        .value_kind:     by_value
      - .offset:         40
        .size:           1
        .value_kind:     by_value
      - .offset:         48
        .size:           280
        .value_kind:     by_value
      - .offset:         328
        .size:           4
        .value_kind:     hidden_block_count_x
      - .offset:         332
        .size:           4
        .value_kind:     hidden_block_count_y
      - .offset:         336
        .size:           4
        .value_kind:     hidden_block_count_z
      - .offset:         340
        .size:           2
        .value_kind:     hidden_group_size_x
      - .offset:         342
        .size:           2
        .value_kind:     hidden_group_size_y
      - .offset:         344
        .size:           2
        .value_kind:     hidden_group_size_z
      - .offset:         346
        .size:           2
        .value_kind:     hidden_remainder_x
      - .offset:         348
        .size:           2
        .value_kind:     hidden_remainder_y
      - .offset:         350
        .size:           2
        .value_kind:     hidden_remainder_z
      - .offset:         368
        .size:           8
        .value_kind:     hidden_global_offset_x
      - .offset:         376
        .size:           8
        .value_kind:     hidden_global_offset_y
      - .offset:         384
        .size:           8
        .value_kind:     hidden_global_offset_z
      - .offset:         392
        .size:           2
        .value_kind:     hidden_grid_dims
    .group_segment_fixed_size: 0
    .kernarg_segment_align: 8
    .kernarg_segment_size: 584
    .language:       OpenCL C
    .language_version:
      - 2
      - 0
    .max_flat_workgroup_size: 256
    .name:           _ZN2at6native12_GLOBAL__N_143distribution_elementwise_grid_stride_kernelIfLi4EZNS0_9templates4cuda20normal_and_transformIN3c108BFloat16EfPNS_17CUDAGeneratorImplEZZZNS4_17log_normal_kernelIS9_EEvRNS_18TensorIteratorBaseEddT_ENKUlvE_clEvENKUlvE2_clEvEUlfE_EEvSC_T1_T2_EUlP25hiprandStatePhilox4_32_10E_ZNS1_27distribution_nullary_kernelIS7_f15HIP_vector_typeIdLj2EES9_SL_SG_EEvSC_SI_RKT3_T4_EUlifE0_EEvlNS_15PhiloxCudaStateESH_SI_
    .private_segment_fixed_size: 0
    .sgpr_count:     106
    .sgpr_spill_count: 0
    .symbol:         _ZN2at6native12_GLOBAL__N_143distribution_elementwise_grid_stride_kernelIfLi4EZNS0_9templates4cuda20normal_and_transformIN3c108BFloat16EfPNS_17CUDAGeneratorImplEZZZNS4_17log_normal_kernelIS9_EEvRNS_18TensorIteratorBaseEddT_ENKUlvE_clEvENKUlvE2_clEvEUlfE_EEvSC_T1_T2_EUlP25hiprandStatePhilox4_32_10E_ZNS1_27distribution_nullary_kernelIS7_f15HIP_vector_typeIdLj2EES9_SL_SG_EEvSC_SI_RKT3_T4_EUlifE0_EEvlNS_15PhiloxCudaStateESH_SI_.kd
    .uniform_work_group_size: 1
    .uses_dynamic_stack: false
    .vgpr_count:     58
    .vgpr_spill_count: 0
    .wavefront_size: 32
    .workgroup_processor_mode: 1
  - .args:
      - .offset:         0
        .size:           8
        .value_kind:     by_value
      - .offset:         8
        .size:           32
        .value_kind:     by_value
      - .offset:         40
        .size:           1
        .value_kind:     by_value
      - .offset:         48
        .size:           24
        .value_kind:     by_value
      - .offset:         72
        .size:           4
        .value_kind:     hidden_block_count_x
      - .offset:         76
        .size:           4
        .value_kind:     hidden_block_count_y
      - .offset:         80
        .size:           4
        .value_kind:     hidden_block_count_z
      - .offset:         84
        .size:           2
        .value_kind:     hidden_group_size_x
      - .offset:         86
        .size:           2
        .value_kind:     hidden_group_size_y
      - .offset:         88
        .size:           2
        .value_kind:     hidden_group_size_z
      - .offset:         90
        .size:           2
        .value_kind:     hidden_remainder_x
      - .offset:         92
        .size:           2
        .value_kind:     hidden_remainder_y
      - .offset:         94
        .size:           2
        .value_kind:     hidden_remainder_z
      - .offset:         112
        .size:           8
        .value_kind:     hidden_global_offset_x
      - .offset:         120
        .size:           8
        .value_kind:     hidden_global_offset_y
      - .offset:         128
        .size:           8
        .value_kind:     hidden_global_offset_z
      - .offset:         136
        .size:           2
        .value_kind:     hidden_grid_dims
    .group_segment_fixed_size: 0
    .kernarg_segment_align: 8
    .kernarg_segment_size: 328
    .language:       OpenCL C
    .language_version:
      - 2
      - 0
    .max_flat_workgroup_size: 256
    .name:           _ZN2at6native12_GLOBAL__N_143distribution_elementwise_grid_stride_kernelIfLi4EZNS0_9templates4cuda20normal_and_transformIN3c108BFloat16EfPNS_17CUDAGeneratorImplEZZZNS4_17log_normal_kernelIS9_EEvRNS_18TensorIteratorBaseEddT_ENKUlvE_clEvENKUlvE2_clEvEUlfE_EEvSC_T1_T2_EUlP25hiprandStatePhilox4_32_10E0_ZNS1_27distribution_nullary_kernelIS7_f15HIP_vector_typeIfLj4EES9_SL_SG_EEvSC_SI_RKT3_T4_EUlifE_EEvlNS_15PhiloxCudaStateESH_SI_
    .private_segment_fixed_size: 0
    .sgpr_count:     25
    .sgpr_spill_count: 0
    .symbol:         _ZN2at6native12_GLOBAL__N_143distribution_elementwise_grid_stride_kernelIfLi4EZNS0_9templates4cuda20normal_and_transformIN3c108BFloat16EfPNS_17CUDAGeneratorImplEZZZNS4_17log_normal_kernelIS9_EEvRNS_18TensorIteratorBaseEddT_ENKUlvE_clEvENKUlvE2_clEvEUlfE_EEvSC_T1_T2_EUlP25hiprandStatePhilox4_32_10E0_ZNS1_27distribution_nullary_kernelIS7_f15HIP_vector_typeIfLj4EES9_SL_SG_EEvSC_SI_RKT3_T4_EUlifE_EEvlNS_15PhiloxCudaStateESH_SI_.kd
    .uniform_work_group_size: 1
    .uses_dynamic_stack: false
    .vgpr_count:     46
    .vgpr_spill_count: 0
    .wavefront_size: 32
    .workgroup_processor_mode: 1
  - .args:
      - .offset:         0
        .size:           8
        .value_kind:     by_value
      - .offset:         8
        .size:           32
        .value_kind:     by_value
      - .offset:         40
        .size:           1
        .value_kind:     by_value
      - .offset:         48
        .size:           280
        .value_kind:     by_value
      - .offset:         328
        .size:           4
        .value_kind:     hidden_block_count_x
      - .offset:         332
        .size:           4
        .value_kind:     hidden_block_count_y
      - .offset:         336
        .size:           4
        .value_kind:     hidden_block_count_z
      - .offset:         340
        .size:           2
        .value_kind:     hidden_group_size_x
      - .offset:         342
        .size:           2
        .value_kind:     hidden_group_size_y
      - .offset:         344
        .size:           2
        .value_kind:     hidden_group_size_z
      - .offset:         346
        .size:           2
        .value_kind:     hidden_remainder_x
      - .offset:         348
        .size:           2
        .value_kind:     hidden_remainder_y
      - .offset:         350
        .size:           2
        .value_kind:     hidden_remainder_z
      - .offset:         368
        .size:           8
        .value_kind:     hidden_global_offset_x
      - .offset:         376
        .size:           8
        .value_kind:     hidden_global_offset_y
      - .offset:         384
        .size:           8
        .value_kind:     hidden_global_offset_z
      - .offset:         392
        .size:           2
        .value_kind:     hidden_grid_dims
    .group_segment_fixed_size: 0
    .kernarg_segment_align: 8
    .kernarg_segment_size: 584
    .language:       OpenCL C
    .language_version:
      - 2
      - 0
    .max_flat_workgroup_size: 256
    .name:           _ZN2at6native12_GLOBAL__N_143distribution_elementwise_grid_stride_kernelIfLi4EZNS0_9templates4cuda20normal_and_transformIN3c108BFloat16EfPNS_17CUDAGeneratorImplEZZZNS4_17log_normal_kernelIS9_EEvRNS_18TensorIteratorBaseEddT_ENKUlvE_clEvENKUlvE2_clEvEUlfE_EEvSC_T1_T2_EUlP25hiprandStatePhilox4_32_10E0_ZNS1_27distribution_nullary_kernelIS7_f15HIP_vector_typeIfLj4EES9_SL_SG_EEvSC_SI_RKT3_T4_EUlifE0_EEvlNS_15PhiloxCudaStateESH_SI_
    .private_segment_fixed_size: 0
    .sgpr_count:     58
    .sgpr_spill_count: 0
    .symbol:         _ZN2at6native12_GLOBAL__N_143distribution_elementwise_grid_stride_kernelIfLi4EZNS0_9templates4cuda20normal_and_transformIN3c108BFloat16EfPNS_17CUDAGeneratorImplEZZZNS4_17log_normal_kernelIS9_EEvRNS_18TensorIteratorBaseEddT_ENKUlvE_clEvENKUlvE2_clEvEUlfE_EEvSC_T1_T2_EUlP25hiprandStatePhilox4_32_10E0_ZNS1_27distribution_nullary_kernelIS7_f15HIP_vector_typeIfLj4EES9_SL_SG_EEvSC_SI_RKT3_T4_EUlifE0_EEvlNS_15PhiloxCudaStateESH_SI_.kd
    .uniform_work_group_size: 1
    .uses_dynamic_stack: false
    .vgpr_count:     45
    .vgpr_spill_count: 0
    .wavefront_size: 32
    .workgroup_processor_mode: 1
amdhsa.target:   amdgcn-amd-amdhsa--gfx1100
amdhsa.version:
  - 1
  - 2
...

	.end_amdgpu_metadata
